;; amdgpu-corpus repo=ROCm/rocFFT kind=compiled arch=gfx950 opt=O3
	.text
	.amdgcn_target "amdgcn-amd-amdhsa--gfx950"
	.amdhsa_code_object_version 6
	.protected	fft_rtc_back_len1728_factors_3_6_6_16_wgs_108_tpt_108_halfLds_sp_op_CI_CI_unitstride_sbrr_R2C_dirReg ; -- Begin function fft_rtc_back_len1728_factors_3_6_6_16_wgs_108_tpt_108_halfLds_sp_op_CI_CI_unitstride_sbrr_R2C_dirReg
	.globl	fft_rtc_back_len1728_factors_3_6_6_16_wgs_108_tpt_108_halfLds_sp_op_CI_CI_unitstride_sbrr_R2C_dirReg
	.p2align	8
	.type	fft_rtc_back_len1728_factors_3_6_6_16_wgs_108_tpt_108_halfLds_sp_op_CI_CI_unitstride_sbrr_R2C_dirReg,@function
fft_rtc_back_len1728_factors_3_6_6_16_wgs_108_tpt_108_halfLds_sp_op_CI_CI_unitstride_sbrr_R2C_dirReg: ; @fft_rtc_back_len1728_factors_3_6_6_16_wgs_108_tpt_108_halfLds_sp_op_CI_CI_unitstride_sbrr_R2C_dirReg
; %bb.0:
	s_load_dwordx4 s[4:7], s[0:1], 0x58
	s_load_dwordx4 s[8:11], s[0:1], 0x0
	;; [unrolled: 1-line block ×3, first 2 shown]
	v_mul_u32_u24_e32 v1, 0x25f, v0
	v_add_u32_sdwa v6, s2, v1 dst_sel:DWORD dst_unused:UNUSED_PAD src0_sel:DWORD src1_sel:WORD_1
	v_mov_b32_e32 v4, 0
	s_waitcnt lgkmcnt(0)
	v_cmp_lt_u64_e64 s[2:3], s[10:11], 2
	v_mov_b32_e32 v7, v4
	s_and_b64 vcc, exec, s[2:3]
	v_mov_b64_e32 v[2:3], 0
	s_cbranch_vccnz .LBB0_8
; %bb.1:
	s_load_dwordx2 s[2:3], s[0:1], 0x10
	s_add_u32 s16, s14, 8
	s_addc_u32 s17, s15, 0
	s_add_u32 s18, s12, 8
	s_addc_u32 s19, s13, 0
	s_waitcnt lgkmcnt(0)
	s_add_u32 s20, s2, 8
	v_mov_b64_e32 v[2:3], 0
	s_addc_u32 s21, s3, 0
	s_mov_b64 s[22:23], 1
	v_mov_b64_e32 v[24:25], v[2:3]
.LBB0_2:                                ; =>This Inner Loop Header: Depth=1
	s_load_dwordx2 s[24:25], s[20:21], 0x0
                                        ; implicit-def: $vgpr28_vgpr29
	s_waitcnt lgkmcnt(0)
	v_or_b32_e32 v5, s25, v7
	v_cmp_ne_u64_e32 vcc, 0, v[4:5]
	s_and_saveexec_b64 s[2:3], vcc
	s_xor_b64 s[26:27], exec, s[2:3]
	s_cbranch_execz .LBB0_4
; %bb.3:                                ;   in Loop: Header=BB0_2 Depth=1
	v_cvt_f32_u32_e32 v1, s24
	v_cvt_f32_u32_e32 v5, s25
	s_sub_u32 s2, 0, s24
	s_subb_u32 s3, 0, s25
	v_fmac_f32_e32 v1, 0x4f800000, v5
	v_rcp_f32_e32 v1, v1
	s_nop 0
	v_mul_f32_e32 v1, 0x5f7ffffc, v1
	v_mul_f32_e32 v5, 0x2f800000, v1
	v_trunc_f32_e32 v5, v5
	v_fmac_f32_e32 v1, 0xcf800000, v5
	v_cvt_u32_f32_e32 v5, v5
	v_cvt_u32_f32_e32 v1, v1
	v_mul_lo_u32 v8, s2, v5
	v_mul_hi_u32 v10, s2, v1
	v_mul_lo_u32 v9, s3, v1
	v_add_u32_e32 v10, v10, v8
	v_mul_lo_u32 v12, s2, v1
	v_add_u32_e32 v13, v10, v9
	v_mul_hi_u32 v8, v1, v12
	v_mul_hi_u32 v11, v1, v13
	v_mul_lo_u32 v10, v1, v13
	v_mov_b32_e32 v9, v4
	v_lshl_add_u64 v[8:9], v[8:9], 0, v[10:11]
	v_mul_hi_u32 v11, v5, v12
	v_mul_lo_u32 v12, v5, v12
	v_add_co_u32_e32 v8, vcc, v8, v12
	v_mul_hi_u32 v10, v5, v13
	s_nop 0
	v_addc_co_u32_e32 v8, vcc, v9, v11, vcc
	v_mov_b32_e32 v9, v4
	s_nop 0
	v_addc_co_u32_e32 v11, vcc, 0, v10, vcc
	v_mul_lo_u32 v10, v5, v13
	v_lshl_add_u64 v[8:9], v[8:9], 0, v[10:11]
	v_add_co_u32_e32 v1, vcc, v1, v8
	v_mul_lo_u32 v10, s2, v1
	s_nop 0
	v_addc_co_u32_e32 v5, vcc, v5, v9, vcc
	v_mul_lo_u32 v8, s2, v5
	v_mul_hi_u32 v9, s2, v1
	v_add_u32_e32 v8, v9, v8
	v_mul_lo_u32 v9, s3, v1
	v_add_u32_e32 v12, v8, v9
	v_mul_hi_u32 v14, v5, v10
	v_mul_lo_u32 v15, v5, v10
	v_mul_hi_u32 v9, v1, v12
	v_mul_lo_u32 v8, v1, v12
	v_mul_hi_u32 v10, v1, v10
	v_mov_b32_e32 v11, v4
	v_lshl_add_u64 v[8:9], v[10:11], 0, v[8:9]
	v_add_co_u32_e32 v8, vcc, v8, v15
	v_mul_hi_u32 v13, v5, v12
	s_nop 0
	v_addc_co_u32_e32 v8, vcc, v9, v14, vcc
	v_mul_lo_u32 v10, v5, v12
	s_nop 0
	v_addc_co_u32_e32 v11, vcc, 0, v13, vcc
	v_mov_b32_e32 v9, v4
	v_lshl_add_u64 v[8:9], v[8:9], 0, v[10:11]
	v_add_co_u32_e32 v1, vcc, v1, v8
	v_mul_hi_u32 v10, v6, v1
	s_nop 0
	v_addc_co_u32_e32 v5, vcc, v5, v9, vcc
	v_mad_u64_u32 v[8:9], s[2:3], v6, v5, 0
	v_mov_b32_e32 v11, v4
	v_lshl_add_u64 v[8:9], v[10:11], 0, v[8:9]
	v_mad_u64_u32 v[12:13], s[2:3], v7, v1, 0
	v_add_co_u32_e32 v1, vcc, v8, v12
	v_mad_u64_u32 v[10:11], s[2:3], v7, v5, 0
	s_nop 0
	v_addc_co_u32_e32 v8, vcc, v9, v13, vcc
	v_mov_b32_e32 v9, v4
	s_nop 0
	v_addc_co_u32_e32 v11, vcc, 0, v11, vcc
	v_lshl_add_u64 v[8:9], v[8:9], 0, v[10:11]
	v_mul_lo_u32 v1, s25, v8
	v_mul_lo_u32 v5, s24, v9
	v_mad_u64_u32 v[10:11], s[2:3], s24, v8, 0
	v_add3_u32 v1, v11, v5, v1
	v_sub_u32_e32 v5, v7, v1
	v_mov_b32_e32 v11, s25
	v_sub_co_u32_e32 v14, vcc, v6, v10
	v_lshl_add_u64 v[12:13], v[8:9], 0, 1
	s_nop 0
	v_subb_co_u32_e64 v5, s[2:3], v5, v11, vcc
	v_subrev_co_u32_e64 v10, s[2:3], s24, v14
	v_subb_co_u32_e32 v1, vcc, v7, v1, vcc
	s_nop 0
	v_subbrev_co_u32_e64 v5, s[2:3], 0, v5, s[2:3]
	v_cmp_le_u32_e64 s[2:3], s25, v5
	v_cmp_le_u32_e32 vcc, s25, v1
	s_nop 0
	v_cndmask_b32_e64 v11, 0, -1, s[2:3]
	v_cmp_le_u32_e64 s[2:3], s24, v10
	s_nop 1
	v_cndmask_b32_e64 v10, 0, -1, s[2:3]
	v_cmp_eq_u32_e64 s[2:3], s25, v5
	s_nop 1
	v_cndmask_b32_e64 v5, v11, v10, s[2:3]
	v_lshl_add_u64 v[10:11], v[8:9], 0, 2
	v_cmp_ne_u32_e64 s[2:3], 0, v5
	s_nop 1
	v_cndmask_b32_e64 v5, v13, v11, s[2:3]
	v_cndmask_b32_e64 v11, 0, -1, vcc
	v_cmp_le_u32_e32 vcc, s24, v14
	s_nop 1
	v_cndmask_b32_e64 v13, 0, -1, vcc
	v_cmp_eq_u32_e32 vcc, s25, v1
	s_nop 1
	v_cndmask_b32_e32 v1, v11, v13, vcc
	v_cmp_ne_u32_e32 vcc, 0, v1
	v_cndmask_b32_e64 v1, v12, v10, s[2:3]
	s_nop 0
	v_cndmask_b32_e32 v29, v9, v5, vcc
	v_cndmask_b32_e32 v28, v8, v1, vcc
.LBB0_4:                                ;   in Loop: Header=BB0_2 Depth=1
	s_andn2_saveexec_b64 s[2:3], s[26:27]
	s_cbranch_execz .LBB0_6
; %bb.5:                                ;   in Loop: Header=BB0_2 Depth=1
	v_cvt_f32_u32_e32 v1, s24
	s_sub_i32 s26, 0, s24
	v_mov_b32_e32 v29, v4
	v_rcp_iflag_f32_e32 v1, v1
	s_nop 0
	v_mul_f32_e32 v1, 0x4f7ffffe, v1
	v_cvt_u32_f32_e32 v1, v1
	v_mul_lo_u32 v5, s26, v1
	v_mul_hi_u32 v5, v1, v5
	v_add_u32_e32 v1, v1, v5
	v_mul_hi_u32 v1, v6, v1
	v_mul_lo_u32 v5, v1, s24
	v_sub_u32_e32 v5, v6, v5
	v_add_u32_e32 v8, 1, v1
	v_subrev_u32_e32 v9, s24, v5
	v_cmp_le_u32_e32 vcc, s24, v5
	s_nop 1
	v_cndmask_b32_e32 v5, v5, v9, vcc
	v_cndmask_b32_e32 v1, v1, v8, vcc
	v_add_u32_e32 v8, 1, v1
	v_cmp_le_u32_e32 vcc, s24, v5
	s_nop 1
	v_cndmask_b32_e32 v28, v1, v8, vcc
.LBB0_6:                                ;   in Loop: Header=BB0_2 Depth=1
	s_or_b64 exec, exec, s[2:3]
	v_mad_u64_u32 v[8:9], s[2:3], v28, s24, 0
	s_load_dwordx2 s[2:3], s[18:19], 0x0
	v_mul_lo_u32 v1, v29, s24
	v_mul_lo_u32 v5, v28, s25
	s_load_dwordx2 s[24:25], s[16:17], 0x0
	s_add_u32 s22, s22, 1
	v_add3_u32 v1, v9, v5, v1
	v_sub_co_u32_e32 v5, vcc, v6, v8
	s_addc_u32 s23, s23, 0
	s_nop 0
	v_subb_co_u32_e32 v1, vcc, v7, v1, vcc
	s_add_u32 s16, s16, 8
	s_waitcnt lgkmcnt(0)
	v_mul_lo_u32 v6, s2, v1
	v_mul_lo_u32 v7, s3, v5
	v_mad_u64_u32 v[2:3], s[2:3], s2, v5, v[2:3]
	s_addc_u32 s17, s17, 0
	v_add3_u32 v3, v7, v3, v6
	v_mul_lo_u32 v1, s24, v1
	v_mul_lo_u32 v6, s25, v5
	v_mad_u64_u32 v[24:25], s[2:3], s24, v5, v[24:25]
	s_add_u32 s18, s18, 8
	v_add3_u32 v25, v6, v25, v1
	s_addc_u32 s19, s19, 0
	v_mov_b64_e32 v[6:7], s[10:11]
	s_add_u32 s20, s20, 8
	v_cmp_ge_u64_e32 vcc, s[22:23], v[6:7]
	s_addc_u32 s21, s21, 0
	s_cbranch_vccnz .LBB0_9
; %bb.7:                                ;   in Loop: Header=BB0_2 Depth=1
	v_mov_b64_e32 v[6:7], v[28:29]
	s_branch .LBB0_2
.LBB0_8:
	v_mov_b64_e32 v[24:25], v[2:3]
	v_mov_b64_e32 v[28:29], v[6:7]
.LBB0_9:
	s_load_dwordx2 s[18:19], s[0:1], 0x28
	s_lshl_b64 s[16:17], s[10:11], 3
	s_add_u32 s2, s14, s16
	s_addc_u32 s3, s15, s17
                                        ; implicit-def: $vgpr26
                                        ; implicit-def: $vgpr30
                                        ; implicit-def: $vgpr38
                                        ; implicit-def: $vgpr36
                                        ; implicit-def: $vgpr34
                                        ; implicit-def: $vgpr32
	s_waitcnt lgkmcnt(0)
	v_cmp_gt_u64_e64 s[0:1], s[18:19], v[28:29]
	v_cmp_le_u64_e32 vcc, s[18:19], v[28:29]
	s_and_saveexec_b64 s[10:11], vcc
	s_xor_b64 s[10:11], exec, s[10:11]
; %bb.10:
	s_mov_b32 s14, 0x25ed098
	v_mul_hi_u32 v1, v0, s14
	v_mul_u32_u24_e32 v1, 0x6c, v1
	v_sub_u32_e32 v26, v0, v1
	v_add_u32_e32 v30, 0x6c, v26
	v_add_u32_e32 v38, 0xd8, v26
	;; [unrolled: 1-line block ×5, first 2 shown]
                                        ; implicit-def: $vgpr0
                                        ; implicit-def: $vgpr2_vgpr3
; %bb.11:
	s_andn2_saveexec_b64 s[10:11], s[10:11]
	s_cbranch_execz .LBB0_13
; %bb.12:
	s_add_u32 s12, s12, s16
	s_addc_u32 s13, s13, s17
	s_load_dwordx2 s[12:13], s[12:13], 0x0
	s_mov_b32 s14, 0x25ed098
	s_waitcnt lgkmcnt(0)
	v_mul_lo_u32 v1, s13, v28
	v_mul_lo_u32 v6, s12, v29
	v_mad_u64_u32 v[4:5], s[12:13], s12, v28, 0
	v_add3_u32 v5, v5, v6, v1
	v_mul_hi_u32 v1, v0, s14
	v_mul_u32_u24_e32 v1, 0x6c, v1
	v_sub_u32_e32 v26, v0, v1
	v_lshl_add_u64 v[0:1], v[4:5], 3, s[4:5]
	v_lshl_add_u64 v[0:1], v[2:3], 3, v[0:1]
	v_lshlrev_b32_e32 v2, 3, v26
	v_mov_b32_e32 v3, 0
	v_lshl_add_u64 v[0:1], v[0:1], 0, v[2:3]
	s_movk_i32 s4, 0x1000
	v_add_co_u32_e32 v12, vcc, s4, v0
	s_movk_i32 s4, 0x2000
	s_nop 0
	v_addc_co_u32_e32 v13, vcc, 0, v1, vcc
	v_add_co_u32_e32 v22, vcc, s4, v0
	global_load_dwordx2 v[4:5], v[0:1], off
	global_load_dwordx2 v[6:7], v[0:1], off offset:864
	global_load_dwordx2 v[8:9], v[0:1], off offset:1728
	;; [unrolled: 1-line block ×3, first 2 shown]
	v_addc_co_u32_e32 v23, vcc, 0, v1, vcc
	global_load_dwordx2 v[14:15], v[0:1], off offset:3456
	global_load_dwordx2 v[16:17], v[12:13], off offset:224
	;; [unrolled: 1-line block ×8, first 2 shown]
	v_add_co_u32_e32 v0, vcc, 0x3000, v0
	v_add_u32_e32 v30, 0x6c, v26
	s_nop 0
	v_addc_co_u32_e32 v1, vcc, 0, v1, vcc
	global_load_dwordx2 v[12:13], v[22:23], off offset:2176
	global_load_dwordx2 v[48:49], v[22:23], off offset:3040
	;; [unrolled: 1-line block ×4, first 2 shown]
	v_add_u32_e32 v0, 0, v2
	v_add_u32_e32 v38, 0xd8, v26
	;; [unrolled: 1-line block ×11, first 2 shown]
	s_waitcnt vmcnt(14)
	ds_write2_b64 v0, v[4:5], v[6:7] offset1:108
	s_waitcnt vmcnt(12)
	ds_write2_b64 v1, v[8:9], v[10:11] offset0:88 offset1:196
	s_waitcnt vmcnt(10)
	ds_write2_b64 v2, v[14:15], v[16:17] offset0:48 offset1:156
	;; [unrolled: 2-line block ×6, first 2 shown]
	v_add_u32_e32 v0, 0x2c00, v0
	s_waitcnt vmcnt(0)
	ds_write2_b64 v0, v[50:51], v[52:53] offset0:104 offset1:212
.LBB0_13:
	s_or_b64 exec, exec, s[10:11]
	v_lshl_add_u32 v56, v26, 3, 0
	v_add_u32_e32 v0, 0xc00, v56
	v_add_u32_e32 v4, 0x1c00, v56
	s_load_dwordx2 s[4:5], s[2:3], 0x0
	s_waitcnt lgkmcnt(0)
	s_barrier
	ds_read2_b64 v[0:3], v0 offset0:48 offset1:156
	ds_read2_b64 v[4:7], v4 offset0:112 offset1:220
	v_add_u32_e32 v8, 0x3000, v56
	ds_read2_b64 v[8:11], v8 offset0:48 offset1:156
	s_mov_b32 s2, 0x3f5db3d7
	v_add_u32_e32 v20, 0x2800, v56
	s_waitcnt lgkmcnt(1)
	v_pk_add_f32 v[12:13], v[0:1], v[4:5]
	v_mad_i32_i24 v27, v30, 24, 0
	s_waitcnt lgkmcnt(0)
	v_pk_add_f32 v[40:41], v[12:13], v[8:9]
	v_pk_add_f32 v[12:13], v[4:5], v[8:9]
	v_pk_add_f32 v[4:5], v[4:5], v[8:9] neg_lo:[0,1] neg_hi:[0,1]
	v_pk_fma_f32 v[0:1], v[12:13], 0.5, v[0:1] op_sel_hi:[1,0,1] neg_lo:[1,0,0] neg_hi:[1,0,0]
	v_cmp_gt_u32_e32 vcc, 36, v26
	v_pk_fma_f32 v[50:51], v[4:5], s[2:3], v[0:1] op_sel:[0,0,1] op_sel_hi:[1,0,0]
	v_pk_fma_f32 v[52:53], v[4:5], s[2:3], v[0:1] op_sel:[0,0,1] op_sel_hi:[1,0,0] neg_lo:[1,0,0] neg_hi:[1,0,0]
	v_pk_add_f32 v[0:1], v[6:7], v[10:11]
	v_pk_add_f32 v[4:5], v[6:7], v[10:11] neg_lo:[0,1] neg_hi:[0,1]
	v_pk_fma_f32 v[0:1], v[0:1], 0.5, v[2:3] op_sel_hi:[1,0,1] neg_lo:[1,0,0] neg_hi:[1,0,0]
	v_pk_add_f32 v[2:3], v[2:3], v[6:7]
	v_pk_mul_f32 v[4:5], v[4:5], s[2:3] op_sel_hi:[1,0]
	v_pk_add_f32 v[44:45], v[2:3], v[10:11]
	v_add_u32_e32 v2, 0x1000, v56
	v_pk_add_f32 v[46:47], v[0:1], v[4:5] op_sel:[0,1] op_sel_hi:[1,0]
	v_pk_add_f32 v[42:43], v[0:1], v[4:5] op_sel:[0,1] op_sel_hi:[1,0] neg_lo:[0,1] neg_hi:[0,1]
	v_add_u32_e32 v0, 0x400, v56
	ds_read2_b64 v[8:11], v56 offset1:108
	ds_read2_b64 v[12:15], v2 offset0:64 offset1:172
	v_add_u32_e32 v1, 0x2000, v56
	ds_read2_b64 v[4:7], v0 offset0:88 offset1:196
	v_add_u32_e32 v0, 0x1800, v56
	ds_read2_b64 v[16:19], v1 offset0:128 offset1:236
	ds_read2_b64 v[58:61], v0 offset0:24 offset1:132
	;; [unrolled: 1-line block ×3, first 2 shown]
	s_waitcnt lgkmcnt(4)
	v_pk_add_f32 v[20:21], v[8:9], v[12:13]
	v_lshl_add_u32 v3, v26, 4, v56
	s_waitcnt lgkmcnt(2)
	v_pk_add_f32 v[22:23], v[12:13], v[16:17]
	v_pk_add_f32 v[12:13], v[12:13], v[16:17] neg_lo:[0,1] neg_hi:[0,1]
	v_pk_fma_f32 v[8:9], v[22:23], 0.5, v[8:9] op_sel_hi:[1,0,1] neg_lo:[1,0,0] neg_hi:[1,0,0]
	v_pk_mul_f32 v[12:13], v[12:13], s[2:3] op_sel_hi:[1,0]
	v_pk_add_f32 v[20:21], v[20:21], v[16:17]
	v_pk_add_f32 v[16:17], v[8:9], v[12:13] op_sel:[0,1] op_sel_hi:[1,0] neg_lo:[0,1] neg_hi:[0,1]
	v_pk_add_f32 v[8:9], v[8:9], v[12:13] op_sel:[0,1] op_sel_hi:[1,0]
	v_mov_b32_e32 v12, v16
	v_mov_b32_e32 v13, v9
	;; [unrolled: 1-line block ×3, first 2 shown]
	s_waitcnt lgkmcnt(0)
	s_barrier
	ds_write2_b64 v3, v[20:21], v[12:13] offset1:1
	v_pk_add_f32 v[12:13], v[14:15], v[18:19]
	ds_write_b64 v3, v[8:9] offset:16
	v_pk_add_f32 v[8:9], v[14:15], v[18:19] neg_lo:[0,1] neg_hi:[0,1]
	v_pk_fma_f32 v[12:13], v[12:13], 0.5, v[10:11] op_sel_hi:[1,0,1] neg_lo:[1,0,0] neg_hi:[1,0,0]
	v_pk_mul_f32 v[8:9], v[8:9], s[2:3] op_sel_hi:[1,0]
	v_pk_add_f32 v[10:11], v[10:11], v[14:15]
	v_pk_add_f32 v[14:15], v[12:13], v[8:9] op_sel:[0,1] op_sel_hi:[1,0] neg_lo:[0,1] neg_hi:[0,1]
	v_pk_add_f32 v[8:9], v[12:13], v[8:9] op_sel:[0,1] op_sel_hi:[1,0]
	v_pk_add_f32 v[16:17], v[4:5], v[58:59]
	v_mov_b32_e32 v13, v9
	v_mov_b32_e32 v9, v15
	ds_write_b64 v27, v[8:9] offset:16
	v_pk_add_f32 v[8:9], v[58:59], v[62:63]
	v_pk_add_f32 v[10:11], v[10:11], v[18:19]
	v_pk_fma_f32 v[4:5], v[8:9], 0.5, v[4:5] op_sel_hi:[1,0,1] neg_lo:[1,0,0] neg_hi:[1,0,0]
	v_pk_add_f32 v[8:9], v[58:59], v[62:63] neg_lo:[0,1] neg_hi:[0,1]
	v_mov_b32_e32 v12, v14
	v_pk_mul_f32 v[8:9], v[8:9], s[2:3] op_sel_hi:[1,0]
	ds_write2_b64 v27, v[10:11], v[12:13] offset1:1
	v_pk_add_f32 v[10:11], v[4:5], v[8:9] op_sel:[0,1] op_sel_hi:[1,0] neg_lo:[0,1] neg_hi:[0,1]
	v_pk_add_f32 v[4:5], v[4:5], v[8:9] op_sel:[0,1] op_sel_hi:[1,0]
	v_mad_i32_i24 v20, v38, 24, 0
	v_mov_b32_e32 v9, v5
	v_mov_b32_e32 v5, v11
	ds_write_b64 v20, v[4:5] offset:16
	v_pk_add_f32 v[4:5], v[60:61], v[64:65]
	v_pk_add_f32 v[22:23], v[6:7], v[60:61]
	v_pk_fma_f32 v[4:5], v[4:5], 0.5, v[6:7] op_sel_hi:[1,0,1] neg_lo:[1,0,0] neg_hi:[1,0,0]
	v_pk_add_f32 v[6:7], v[60:61], v[64:65] neg_lo:[0,1] neg_hi:[0,1]
	v_pk_add_f32 v[16:17], v[16:17], v[62:63]
	v_mov_b32_e32 v8, v10
	v_pk_mul_f32 v[6:7], v[6:7], s[2:3] op_sel_hi:[1,0]
	ds_write2_b64 v20, v[16:17], v[8:9] offset1:1
	v_pk_add_f32 v[8:9], v[4:5], v[6:7] op_sel:[0,1] op_sel_hi:[1,0] neg_lo:[0,1] neg_hi:[0,1]
	v_pk_add_f32 v[4:5], v[4:5], v[6:7] op_sel:[0,1] op_sel_hi:[1,0]
	v_mad_i32_i24 v21, v36, 24, 0
	v_mov_b32_e32 v7, v5
	v_mov_b32_e32 v5, v9
	v_pk_add_f32 v[22:23], v[22:23], v[64:65]
	v_mov_b32_e32 v6, v8
	ds_write_b64 v21, v[4:5] offset:16
	v_mad_i32_i24 v3, v34, 24, 0
	v_mov_b32_e32 v4, v53
	v_mov_b32_e32 v5, v50
	ds_write2_b64 v21, v[22:23], v[6:7] offset1:1
	ds_write2_b64 v3, v[40:41], v[4:5] offset1:1
	v_mov_b32_e32 v4, v51
	v_mov_b32_e32 v5, v52
	ds_write_b64 v3, v[4:5] offset:16
	s_and_saveexec_b64 s[2:3], vcc
	s_cbranch_execz .LBB0_15
; %bb.14:
	v_mad_i32_i24 v3, v32, 24, 0
	v_mov_b32_e32 v4, v42
	v_mov_b32_e32 v5, v47
	ds_write2_b64 v3, v[44:45], v[4:5] offset1:1
	v_mov_b32_e32 v4, v46
	v_mov_b32_e32 v5, v43
	ds_write_b64 v3, v[4:5] offset:16
.LBB0_15:
	s_or_b64 exec, exec, s[2:3]
	v_add_u32_e32 v3, 0x800, v56
	s_waitcnt lgkmcnt(0)
	s_barrier
	ds_read2_b64 v[12:15], v3 offset0:32 offset1:140
	ds_read2_b64 v[16:19], v2 offset0:64 offset1:172
	;; [unrolled: 1-line block ×4, first 2 shown]
	v_add_u32_e32 v0, 0x2c00, v56
	v_lshlrev_b32_e32 v31, 4, v30
	ds_read2_b64 v[0:3], v0 offset0:32 offset1:140
	v_sub_u32_e32 v21, v27, v31
	ds_read_b64 v[54:55], v56
	ds_read_b64 v[48:49], v21
	s_movk_i32 s2, 0x48
	v_cmp_gt_u32_e32 vcc, s2, v26
	s_movk_i32 s2, 0x47
	v_cmp_lt_u32_e64 s[2:3], s2, v26
	s_and_saveexec_b64 s[10:11], s[2:3]
	s_xor_b64 s[10:11], exec, s[10:11]
; %bb.16:
                                        ; implicit-def: $vgpr20
; %bb.17:
	s_andn2_saveexec_b64 s[10:11], s[10:11]
	s_cbranch_execz .LBB0_19
; %bb.18:
	v_lshlrev_b32_e32 v21, 4, v38
	v_sub_u32_e32 v33, v20, v21
	ds_read_b64 v[20:21], v56 offset:4032
	ds_read_b64 v[22:23], v56 offset:6336
	ds_read_b64 v[40:41], v33
	ds_read_b64 v[58:59], v56 offset:13248
	ds_read_b64 v[42:43], v56 offset:10944
	;; [unrolled: 1-line block ×3, first 2 shown]
	s_waitcnt lgkmcnt(5)
	v_mov_b32_e32 v50, v21
	s_waitcnt lgkmcnt(4)
	v_mov_b32_e32 v51, v22
	;; [unrolled: 2-line block ×4, first 2 shown]
	v_mov_b32_e32 v52, v23
	v_mov_b32_e32 v53, v20
	;; [unrolled: 1-line block ×3, first 2 shown]
.LBB0_19:
	s_or_b64 exec, exec, s[10:11]
	s_movk_i32 s10, 0xab
	v_mul_lo_u16_sdwa v20, v30, s10 dst_sel:DWORD dst_unused:UNUSED_PAD src0_sel:BYTE_0 src1_sel:DWORD
	v_mul_lo_u16_sdwa v35, v26, s10 dst_sel:DWORD dst_unused:UNUSED_PAD src0_sel:BYTE_0 src1_sel:DWORD
	v_lshrrev_b16_e32 v37, 9, v20
	v_lshrrev_b16_e32 v98, 9, v35
	v_mul_lo_u16_e32 v20, 3, v37
	v_mul_lo_u16_e32 v35, 3, v98
	v_mov_b32_e32 v33, 5
	v_sub_u16_e32 v39, v30, v20
	v_sub_u16_e32 v99, v26, v35
	v_mul_u32_u24_sdwa v20, v39, v33 dst_sel:DWORD dst_unused:UNUSED_PAD src0_sel:BYTE_0 src1_sel:DWORD
	v_mul_u32_u24_sdwa v33, v99, v33 dst_sel:DWORD dst_unused:UNUSED_PAD src0_sel:BYTE_0 src1_sel:DWORD
	s_mov_b32 s10, 0xaaab
	v_lshlrev_b32_e32 v84, 3, v33
	v_mul_u32_u24_sdwa v33, v38, s10 dst_sel:DWORD dst_unused:UNUSED_PAD src0_sel:WORD_0 src1_sel:DWORD
	v_lshrrev_b32_e32 v33, 17, v33
	v_mul_lo_u16_e32 v35, 3, v33
	v_lshlrev_b32_e32 v57, 3, v20
	v_sub_u16_e32 v35, v38, v35
	global_load_dwordx4 v[20:23], v57, s[8:9]
	v_mul_u32_u24_e32 v70, 5, v35
	global_load_dwordx4 v[58:61], v84, s[8:9]
	global_load_dwordx4 v[62:65], v57, s[8:9] offset:16
	global_load_dwordx4 v[66:69], v84, s[8:9] offset:16
	v_lshlrev_b32_e32 v80, 3, v70
	global_load_dwordx4 v[70:73], v80, s[8:9]
	global_load_dwordx4 v[74:77], v80, s[8:9] offset:16
	global_load_dwordx2 v[78:79], v80, s[8:9] offset:32
	s_nop 0
	global_load_dwordx2 v[80:81], v84, s[8:9] offset:32
	global_load_dwordx2 v[82:83], v57, s[8:9] offset:32
	s_mov_b32 s10, 0x3f5db3d7
	s_mov_b32 s12, 0.5
	s_mov_b32 s13, s10
	s_waitcnt lgkmcnt(0)
	s_barrier
	s_mov_b32 s14, -0.5
	s_mov_b32 s15, s10
	s_waitcnt vmcnt(7)
	v_pk_mul_f32 v[88:89], v[58:59], v[12:13] op_sel:[0,1]
	v_pk_mul_f32 v[84:85], v[20:21], v[14:15] op_sel:[0,1]
	;; [unrolled: 1-line block ×4, first 2 shown]
	v_pk_fma_f32 v[94:95], v[20:21], v[14:15], v[84:85] op_sel:[0,0,1] op_sel_hi:[1,0,0]
	v_pk_fma_f32 v[84:85], v[20:21], v[14:15], v[84:85] op_sel:[0,0,1] op_sel_hi:[1,0,0] neg_lo:[1,0,0] neg_hi:[1,0,0]
	v_pk_fma_f32 v[96:97], v[22:23], v[18:19], v[86:87] op_sel:[0,0,1] op_sel_hi:[1,1,0]
	v_pk_fma_f32 v[18:19], v[22:23], v[18:19], v[86:87] op_sel:[0,0,1] op_sel_hi:[1,0,0] neg_lo:[1,0,0] neg_hi:[1,0,0]
	s_waitcnt vmcnt(5)
	v_pk_mul_f32 v[14:15], v[66:67], v[8:9] op_sel:[0,1]
	v_pk_fma_f32 v[22:23], v[58:59], v[12:13], v[88:89] op_sel:[0,0,1] op_sel_hi:[1,0,0]
	v_pk_fma_f32 v[58:59], v[58:59], v[12:13], v[88:89] op_sel:[0,0,1] op_sel_hi:[1,0,0] neg_lo:[1,0,0] neg_hi:[1,0,0]
	v_pk_mul_f32 v[12:13], v[68:69], v[4:5] op_sel:[0,1]
	v_pk_fma_f32 v[86:87], v[60:61], v[16:17], v[90:91] op_sel:[0,0,1] op_sel_hi:[1,1,0]
	v_pk_fma_f32 v[16:17], v[60:61], v[16:17], v[90:91] op_sel:[0,0,1] op_sel_hi:[1,0,0] neg_lo:[1,0,0] neg_hi:[1,0,0]
	s_waitcnt vmcnt(4)
	v_pk_mul_f32 v[20:21], v[50:51], v[70:71] op_sel_hi:[0,1]
	v_pk_mul_f32 v[60:61], v[52:53], v[72:73] op_sel_hi:[0,1]
	v_pk_fma_f32 v[88:89], v[52:53], v[70:71], v[20:21] op_sel:[1,0,1] op_sel_hi:[1,1,0]
	v_pk_fma_f32 v[20:21], v[52:53], v[70:71], v[20:21] op_sel:[1,0,1] op_sel_hi:[1,1,0] neg_lo:[1,0,0] neg_hi:[1,0,0]
	v_pk_fma_f32 v[52:53], v[50:51], v[72:73], v[60:61] op_sel:[1,0,1] op_sel_hi:[1,1,0]
	v_pk_fma_f32 v[50:51], v[50:51], v[72:73], v[60:61] op_sel:[1,0,1] op_sel_hi:[1,1,0] neg_lo:[1,0,0] neg_hi:[1,0,0]
	s_waitcnt vmcnt(3)
	v_pk_mul_f32 v[60:61], v[44:45], v[74:75] op_sel:[1,0]
	v_pk_fma_f32 v[72:73], v[66:67], v[8:9], v[14:15] op_sel:[0,0,1] op_sel_hi:[1,1,0]
	v_pk_fma_f32 v[66:67], v[66:67], v[8:9], v[14:15] op_sel:[0,0,1] op_sel_hi:[1,0,0] neg_lo:[1,0,0] neg_hi:[1,0,0]
	v_pk_mul_f32 v[8:9], v[46:47], v[76:77] op_sel:[1,0]
	v_pk_fma_f32 v[90:91], v[68:69], v[4:5], v[12:13] op_sel:[0,0,1] op_sel_hi:[1,1,0]
	v_pk_fma_f32 v[68:69], v[68:69], v[4:5], v[12:13] op_sel:[0,0,1] op_sel_hi:[1,0,0] neg_lo:[1,0,0] neg_hi:[1,0,0]
	s_waitcnt vmcnt(2)
	v_pk_mul_f32 v[4:5], v[42:43], v[78:79] op_sel:[1,0]
	v_pk_mul_f32 v[92:93], v[62:63], v[10:11] op_sel:[0,1]
	v_mov_b32_e32 v16, v65
	v_pk_fma_f32 v[12:13], v[44:45], v[74:75], v[60:61] op_sel:[0,0,1] op_sel_hi:[1,1,0]
	v_pk_fma_f32 v[14:15], v[44:45], v[74:75], v[60:61] op_sel:[0,0,1] op_sel_hi:[0,1,0] neg_lo:[1,0,0] neg_hi:[1,0,0]
	v_pk_fma_f32 v[44:45], v[42:43], v[76:77], v[8:9] op_sel:[0,0,1] op_sel_hi:[1,1,0]
	v_pk_fma_f32 v[8:9], v[42:43], v[76:77], v[8:9] op_sel:[0,0,1] op_sel_hi:[0,1,0] neg_lo:[1,0,0] neg_hi:[1,0,0]
	;; [unrolled: 2-line block ×4, first 2 shown]
	v_pk_mul_f32 v[10:11], v[6:7], v[16:17] op_sel_hi:[1,0]
	v_mov_b32_e32 v53, v51
	v_mov_b32_e32 v13, v15
	;; [unrolled: 1-line block ×4, first 2 shown]
	v_pk_fma_f32 v[46:47], v[6:7], v[64:65], v[10:11] op_sel:[0,0,1] op_sel_hi:[1,1,0]
	v_pk_fma_f32 v[60:61], v[6:7], v[64:65], v[10:11] op_sel:[0,0,1] op_sel_hi:[1,0,0] neg_lo:[0,0,1] neg_hi:[0,0,1]
	v_mov_b32_e32 v89, v21
	v_mov_b32_e32 v14, v88
	v_pk_add_f32 v[4:5], v[40:41], v[52:53]
	v_pk_add_f32 v[8:9], v[52:53], v[44:45]
	v_pk_add_f32 v[10:11], v[52:53], v[44:45] neg_lo:[0,1] neg_hi:[0,1]
	v_pk_add_f32 v[50:51], v[12:13], v[42:43]
	v_pk_add_f32 v[52:53], v[12:13], v[42:43] neg_lo:[0,1] neg_hi:[0,1]
	v_pk_add_f32 v[6:7], v[88:89], v[12:13]
	v_fmac_f32_e32 v14, -0.5, v50
	v_pk_fma_f32 v[8:9], v[8:9], 0.5, v[40:41] op_sel_hi:[1,0,1] neg_lo:[1,0,0] neg_hi:[1,0,0]
	v_pk_mul_f32 v[12:13], v[10:11], s[10:11] op_sel_hi:[1,0]
	v_mul_f32_e32 v16, 0x3f5db3d7, v53
	v_fmac_f32_e32 v21, -0.5, v51
	v_pk_add_f32 v[10:11], v[12:13], v[8:9] op_sel:[1,0] op_sel_hi:[0,1]
	v_pk_add_f32 v[8:9], v[8:9], v[12:13] op_sel:[0,1] op_sel_hi:[1,0] neg_lo:[0,1] neg_hi:[0,1]
	v_pk_add_f32 v[12:13], v[14:15], v[16:17] op_sel_hi:[0,0]
	v_pk_add_f32 v[40:41], v[14:15], v[16:17] op_sel_hi:[0,0] neg_lo:[0,1] neg_hi:[0,1]
	v_mul_f32_e32 v12, 0x3f5db3d7, v52
	v_mov_b32_e32 v14, v21
	v_pk_add_f32 v[20:21], v[14:15], v[12:13] op_sel_hi:[0,0]
	v_pk_add_f32 v[14:15], v[14:15], v[12:13] op_sel_hi:[0,0] neg_lo:[0,1] neg_hi:[0,1]
	v_mov_b32_e32 v21, v15
	s_mov_b32 s11, s12
	v_mov_b32_e32 v41, v13
	v_mul_f32_e32 v12, 0xbf5db3d7, v15
	v_pk_mul_f32 v[14:15], v[20:21], s[10:11]
	v_pk_add_f32 v[6:7], v[6:7], v[42:43]
	v_pk_fma_f32 v[42:43], v[40:41], s[12:13], v[14:15] neg_lo:[0,0,1] neg_hi:[0,0,1]
	v_mul_f32_e32 v15, 0.5, v20
	v_mov_b32_e32 v97, v19
	s_waitcnt vmcnt(0)
	v_pk_mul_f32 v[18:19], v[2:3], v[82:83] op_sel:[0,1]
	v_fmac_f32_e32 v15, 0x3f5db3d7, v40
	v_pk_fma_f32 v[40:41], v[2:3], v[82:83], v[18:19] op_sel:[0,0,1] op_sel_hi:[1,1,0]
	v_pk_fma_f32 v[2:3], v[2:3], v[82:83], v[18:19] op_sel:[0,0,1] op_sel_hi:[1,0,0] neg_lo:[0,0,1] neg_hi:[0,0,1]
	v_fmac_f32_e32 v12, -0.5, v13
	v_mov_b32_e32 v41, v3
	v_mov_b32_e32 v3, 3
	v_mul_u32_u24_e32 v2, 0x90, v98
	v_lshlrev_b32_sdwa v13, v3, v99 dst_sel:DWORD dst_unused:UNUSED_PAD src0_sel:DWORD src1_sel:BYTE_0
	v_add3_u32 v57, 0, v2, v13
	v_lshlrev_b32_sdwa v2, v3, v39 dst_sel:DWORD dst_unused:UNUSED_PAD src0_sel:DWORD src1_sel:BYTE_0
	v_mul_u32_u24_e32 v3, 0x90, v37
	v_add3_u32 v37, 0, v3, v2
	v_pk_mul_f32 v[2:3], v[80:81], v[0:1] op_sel:[0,1]
	v_mov_b32_e32 v87, v17
	v_pk_fma_f32 v[16:17], v[80:81], v[0:1], v[2:3] op_sel:[0,0,1] op_sel_hi:[1,1,0]
	v_pk_fma_f32 v[0:1], v[80:81], v[0:1], v[2:3] op_sel:[0,0,1] op_sel_hi:[1,0,0] neg_lo:[1,0,0] neg_hi:[1,0,0]
	v_mov_b32_e32 v73, v67
	v_mov_b32_e32 v91, v69
	;; [unrolled: 1-line block ×3, first 2 shown]
	v_pk_add_f32 v[0:1], v[54:55], v[86:87]
	v_mov_b32_e32 v23, v59
	v_pk_add_f32 v[2:3], v[0:1], v[90:91]
	v_pk_add_f32 v[0:1], v[72:73], v[16:17]
	v_mov_b32_e32 v14, v42
	v_mov_b32_e32 v13, v43
	v_pk_add_f32 v[20:21], v[8:9], v[42:43]
	v_mov_b32_e32 v18, v22
	v_pk_add_f32 v[42:43], v[72:73], v[16:17] neg_lo:[0,1] neg_hi:[0,1]
	v_pk_add_f32 v[22:23], v[22:23], v[72:73]
	v_fmac_f32_e32 v59, -0.5, v1
	v_pk_add_f32 v[4:5], v[4:5], v[44:45]
	v_fmac_f32_e32 v18, -0.5, v0
	v_pk_add_f32 v[16:17], v[22:23], v[16:17]
	v_fmamk_f32 v22, v42, 0x3f5db3d7, v59
	v_pk_add_f32 v[44:45], v[86:87], v[90:91]
	v_pk_add_f32 v[52:53], v[86:87], v[90:91] neg_lo:[0,1] neg_hi:[0,1]
	v_fmamk_f32 v0, v43, 0xbf5db3d7, v18
	v_pk_fma_f32 v[44:45], v[44:45], 0.5, v[54:55] op_sel_hi:[1,0,1] neg_lo:[1,0,0] neg_hi:[1,0,0]
	v_pk_mul_f32 v[52:53], v[52:53], s[10:11] op_sel_hi:[1,0]
	v_pk_mul_f32 v[22:23], v[22:23], s[10:11] op_sel_hi:[0,1]
	v_pk_add_f32 v[54:55], v[44:45], v[52:53] op_sel:[0,1] op_sel_hi:[1,0] neg_lo:[0,1] neg_hi:[0,1]
	v_pk_add_f32 v[44:45], v[44:45], v[52:53] op_sel:[0,1] op_sel_hi:[1,0]
	v_pk_fma_f32 v[52:53], v[0:1], s[12:13], v[22:23] neg_lo:[0,0,1] neg_hi:[0,0,1]
	v_pk_fma_f32 v[0:1], v[0:1], s[12:13], v[22:23] op_sel_hi:[0,1,1]
	v_mov_b32_e32 v71, v63
	v_mov_b32_e32 v95, v85
	;; [unrolled: 1-line block ×6, first 2 shown]
	v_pk_add_f32 v[50:51], v[2:3], v[16:17]
	v_pk_add_f32 v[0:1], v[22:23], v[52:53]
	;; [unrolled: 1-line block ×3, first 2 shown]
	v_fmac_f32_e32 v59, 0xbf5db3d7, v42
	ds_write2_b64 v57, v[50:51], v[0:1] offset1:3
	v_pk_add_f32 v[0:1], v[70:71], v[40:41]
	v_pk_add_f32 v[62:63], v[70:71], v[40:41] neg_lo:[0,1] neg_hi:[0,1]
	v_pk_add_f32 v[40:41], v[60:61], v[40:41]
	v_mov_b32_e32 v60, v59
	v_mov_b32_e32 v50, v94
	v_fmac_f32_e32 v18, 0x3f5db3d7, v43
	v_pk_mul_f32 v[60:61], v[60:61], s[10:11] op_sel_hi:[0,1]
	v_fmac_f32_e32 v50, -0.5, v0
	v_fmac_f32_e32 v85, -0.5, v1
	v_pk_fma_f32 v[18:19], v[18:19], s[14:15], v[60:61] op_sel_hi:[0,1,1] neg_lo:[0,0,1] neg_hi:[0,0,1]
	v_mov_b32_e32 v45, v55
	v_fmamk_f32 v54, v63, 0xbf5db3d7, v50
	v_fmac_f32_e32 v50, 0x3f5db3d7, v63
	v_fmamk_f32 v58, v62, 0x3f5db3d7, v85
	v_fmac_f32_e32 v85, 0xbf5db3d7, v62
	v_pk_add_f32 v[62:63], v[44:45], v[18:19]
	v_pk_add_f32 v[2:3], v[2:3], v[16:17] neg_lo:[0,1] neg_hi:[0,1]
	ds_write2_b64 v57, v[62:63], v[2:3] offset0:6 offset1:9
	v_pk_add_f32 v[2:3], v[22:23], v[52:53] neg_lo:[0,1] neg_hi:[0,1]
	v_pk_add_f32 v[16:17], v[44:45], v[18:19] neg_lo:[0,1] neg_hi:[0,1]
	ds_write2_b64 v57, v[2:3], v[16:17] offset0:12 offset1:15
	v_pk_add_f32 v[2:3], v[96:97], v[46:47]
	v_pk_add_f32 v[16:17], v[96:97], v[46:47] neg_lo:[0,1] neg_hi:[0,1]
	v_pk_fma_f32 v[2:3], v[2:3], 0.5, v[48:49] op_sel_hi:[1,0,1] neg_lo:[1,0,0] neg_hi:[1,0,0]
	v_pk_mul_f32 v[16:17], v[16:17], s[10:11] op_sel_hi:[1,0]
	v_pk_mul_f32 v[22:23], v[58:59], s[10:11] op_sel_hi:[0,1]
	v_pk_add_f32 v[42:43], v[48:49], v[96:97]
	v_pk_add_f32 v[18:19], v[2:3], v[16:17] op_sel:[0,1] op_sel_hi:[1,0] neg_lo:[0,1] neg_hi:[0,1]
	v_pk_add_f32 v[2:3], v[2:3], v[16:17] op_sel:[0,1] op_sel_hi:[1,0]
	v_pk_fma_f32 v[44:45], v[54:55], s[12:13], v[22:23] neg_lo:[0,0,1] neg_hi:[0,0,1]
	v_pk_fma_f32 v[22:23], v[54:55], s[12:13], v[22:23] op_sel_hi:[0,1,1]
	v_pk_add_f32 v[42:43], v[42:43], v[46:47]
	v_mov_b32_e32 v16, v18
	v_mov_b32_e32 v17, v3
	v_mov_b32_e32 v45, v23
	v_pk_add_f32 v[60:61], v[42:43], v[40:41]
	v_pk_add_f32 v[22:23], v[16:17], v[44:45]
	v_mov_b32_e32 v18, v85
	ds_write2_b64 v37, v[60:61], v[22:23] offset1:3
	v_pk_mul_f32 v[22:23], v[18:19], s[10:11] op_sel_hi:[0,1]
	v_pk_fma_f32 v[22:23], v[50:51], s[14:15], v[22:23] op_sel_hi:[0,1,1] neg_lo:[0,0,1] neg_hi:[0,0,1]
	v_mov_b32_e32 v3, v19
	v_mov_b32_e32 v0, v8
	;; [unrolled: 1-line block ×4, first 2 shown]
	v_pk_add_f32 v[18:19], v[2:3], v[22:23]
	v_pk_add_f32 v[40:41], v[42:43], v[40:41] neg_lo:[0,1] neg_hi:[0,1]
	v_pk_add_f32 v[16:17], v[16:17], v[44:45] neg_lo:[0,1] neg_hi:[0,1]
	v_pk_add_f32 v[2:3], v[2:3], v[22:23] neg_lo:[0,1] neg_hi:[0,1]
	ds_write2_b64 v37, v[18:19], v[40:41] offset0:6 offset1:9
	ds_write2_b64 v37, v[16:17], v[2:3] offset0:12 offset1:15
	s_and_saveexec_b64 s[10:11], s[2:3]
	s_xor_b64 s[10:11], exec, s[10:11]
; %bb.20:
                                        ; implicit-def: $vgpr33
                                        ; implicit-def: $vgpr35
; %bb.21:
	s_or_saveexec_b64 s[10:11], s[10:11]
	v_sub_u32_e32 v31, 0, v31
	v_pk_add_f32 v[22:23], v[4:5], v[6:7]
	v_add_f32_e32 v40, v10, v12
	v_add_f32_e32 v49, v11, v15
	v_pk_add_f32 v[42:43], v[4:5], v[6:7] neg_lo:[0,1] neg_hi:[0,1]
	v_pk_add_f32 v[44:45], v[0:1], v[14:15] neg_lo:[0,1] neg_hi:[0,1]
	;; [unrolled: 1-line block ×3, first 2 shown]
	s_xor_b64 exec, exec, s[10:11]
	s_cbranch_execz .LBB0_23
; %bb.22:
	v_mul_lo_u16_e32 v0, 18, v33
	v_lshlrev_b32_e32 v1, 3, v35
	v_lshlrev_b32_e32 v0, 3, v0
	v_add3_u32 v0, 0, v1, v0
	v_mov_b32_e32 v48, v20
	v_mov_b32_e32 v41, v21
	ds_write2_b64 v0, v[22:23], v[48:49] offset1:3
	ds_write2_b64 v0, v[40:41], v[42:43] offset0:6 offset1:9
	ds_write2_b64 v0, v[44:45], v[46:47] offset0:12 offset1:15
.LBB0_23:
	s_or_b64 exec, exec, s[10:11]
	v_add_u32_e32 v0, 0x800, v56
	s_waitcnt lgkmcnt(0)
	s_barrier
	ds_read2_b64 v[8:11], v0 offset0:32 offset1:140
	v_add_u32_e32 v0, 0x1000, v56
	ds_read2_b64 v[16:19], v0 offset0:64 offset1:172
	v_add_u32_e32 v0, 0x1800, v56
	;; [unrolled: 2-line block ×3, first 2 shown]
	v_add_u32_e32 v12, 0x2c00, v56
	ds_read2_b64 v[0:3], v0 offset0:128 offset1:236
	ds_read2_b64 v[12:15], v12 offset0:32 offset1:140
	v_add_u32_e32 v55, v27, v31
	ds_read_b64 v[52:53], v56
	ds_read_b64 v[50:51], v55
	s_and_saveexec_b64 s[10:11], s[2:3]
	s_xor_b64 s[2:3], exec, s[10:11]
	s_or_saveexec_b64 s[2:3], s[2:3]
	v_lshl_add_u32 v54, v38, 3, 0
	s_xor_b64 exec, exec, s[2:3]
	s_cbranch_execz .LBB0_25
; %bb.24:
	ds_read_b64 v[48:49], v56 offset:4032
	ds_read_b64 v[40:41], v56 offset:6336
	;; [unrolled: 1-line block ×4, first 2 shown]
	ds_read_b64 v[22:23], v54
	ds_read_b64 v[46:47], v56 offset:13248
	s_waitcnt lgkmcnt(5)
	v_mov_b32_e32 v20, v48
	s_waitcnt lgkmcnt(4)
	v_mov_b32_e32 v21, v41
.LBB0_25:
	s_or_b64 exec, exec, s[2:3]
	v_mov_b32_e32 v27, 57
	v_mul_lo_u16_sdwa v31, v26, v27 dst_sel:DWORD dst_unused:UNUSED_PAD src0_sel:BYTE_0 src1_sel:DWORD
	v_mul_lo_u16_sdwa v27, v30, v27 dst_sel:DWORD dst_unused:UNUSED_PAD src0_sel:BYTE_0 src1_sel:DWORD
	v_lshrrev_b16_e32 v31, 10, v31
	v_lshrrev_b16_e32 v27, 10, v27
	v_mul_lo_u16_e32 v33, 18, v31
	v_mul_lo_u16_e32 v37, 18, v27
	v_sub_u16_e32 v33, v26, v33
	v_mov_b32_e32 v35, 5
	v_sub_u16_e32 v37, v30, v37
	v_mul_u32_u24_sdwa v39, v37, v35 dst_sel:DWORD dst_unused:UNUSED_PAD src0_sel:BYTE_0 src1_sel:DWORD
	v_mul_u32_u24_sdwa v35, v33, v35 dst_sel:DWORD dst_unused:UNUSED_PAD src0_sel:BYTE_0 src1_sel:DWORD
	v_lshlrev_b32_e32 v39, 3, v39
	v_lshlrev_b32_e32 v35, 3, v35
	global_load_dwordx4 v[58:61], v39, s[8:9] offset:120
	global_load_dwordx2 v[74:75], v39, s[8:9] offset:152
	global_load_dwordx4 v[62:65], v39, s[8:9] offset:136
	global_load_dwordx4 v[66:69], v35, s[8:9] offset:120
	;; [unrolled: 1-line block ×3, first 2 shown]
	global_load_dwordx2 v[76:77], v35, s[8:9] offset:152
	s_mov_b32 s2, 0.5
	s_mov_b32 s3, 0x3f5db3d7
	s_mov_b32 s14, s3
	;; [unrolled: 1-line block ×4, first 2 shown]
	v_mov_b32_e32 v35, 3
	v_mul_u32_u24_e32 v31, 0x360, v31
	v_lshlrev_b32_sdwa v33, v35, v33 dst_sel:DWORD dst_unused:UNUSED_PAD src0_sel:DWORD src1_sel:BYTE_0
	v_add3_u32 v31, 0, v31, v33
	s_waitcnt lgkmcnt(0)
	s_barrier
	s_mov_b32 s10, -0.5
	s_mov_b32 s11, s3
	v_mul_u32_u24_e32 v27, 0x360, v27
	v_lshlrev_b32_sdwa v35, v35, v37 dst_sel:DWORD dst_unused:UNUSED_PAD src0_sel:DWORD src1_sel:BYTE_0
	v_add3_u32 v27, 0, v27, v35
	s_waitcnt vmcnt(5)
	v_pk_mul_f32 v[78:79], v[58:59], v[10:11] op_sel:[0,1]
	v_pk_mul_f32 v[80:81], v[60:61], v[18:19] op_sel:[0,1]
	s_waitcnt vmcnt(3)
	v_pk_mul_f32 v[82:83], v[62:63], v[6:7] op_sel:[0,1]
	v_mov_b32_e32 v48, v65
	v_pk_mul_f32 v[84:85], v[14:15], v[74:75] op_sel:[0,1]
	s_waitcnt vmcnt(2)
	v_pk_mul_f32 v[86:87], v[66:67], v[8:9] op_sel:[0,1]
	v_pk_mul_f32 v[88:89], v[68:69], v[16:17] op_sel:[0,1]
	s_waitcnt vmcnt(1)
	v_pk_mul_f32 v[90:91], v[70:71], v[4:5] op_sel:[0,1]
	;; [unrolled: 3-line block ×3, first 2 shown]
	v_pk_fma_f32 v[96:97], v[58:59], v[10:11], v[78:79] op_sel:[0,0,1] op_sel_hi:[1,0,0]
	v_pk_fma_f32 v[10:11], v[58:59], v[10:11], v[78:79] op_sel:[0,0,1] op_sel_hi:[1,0,0] neg_lo:[1,0,0] neg_hi:[1,0,0]
	v_pk_fma_f32 v[58:59], v[60:61], v[18:19], v[80:81] op_sel:[0,0,1] op_sel_hi:[1,1,0]
	v_pk_fma_f32 v[18:19], v[60:61], v[18:19], v[80:81] op_sel:[0,0,1] op_sel_hi:[1,0,0] neg_lo:[1,0,0] neg_hi:[1,0,0]
	;; [unrolled: 2-line block ×5, first 2 shown]
	v_pk_mul_f32 v[62:63], v[2:3], v[48:49] op_sel_hi:[1,0]
	v_pk_fma_f32 v[78:79], v[14:15], v[74:75], v[84:85] op_sel:[0,0,1] op_sel_hi:[1,1,0]
	v_pk_fma_f32 v[14:15], v[14:15], v[74:75], v[84:85] op_sel:[0,0,1] op_sel_hi:[1,0,0] neg_lo:[0,0,1] neg_hi:[0,0,1]
	v_pk_fma_f32 v[74:75], v[70:71], v[4:5], v[90:91] op_sel:[0,0,1] op_sel_hi:[1,1,0]
	v_pk_fma_f32 v[4:5], v[70:71], v[4:5], v[90:91] op_sel:[0,0,1] op_sel_hi:[1,0,0] neg_lo:[1,0,0] neg_hi:[1,0,0]
	;; [unrolled: 2-line block ×4, first 2 shown]
	v_mov_b32_e32 v69, v7
	v_pk_fma_f32 v[6:7], v[2:3], v[64:65], v[62:63] op_sel:[0,0,1] op_sel_hi:[1,1,0]
	v_pk_fma_f32 v[2:3], v[2:3], v[64:65], v[62:63] op_sel:[0,0,1] op_sel_hi:[1,0,0] neg_lo:[0,0,1] neg_hi:[0,0,1]
	v_mov_b32_e32 v75, v5
	v_mov_b32_e32 v73, v13
	;; [unrolled: 1-line block ×5, first 2 shown]
	v_pk_add_f32 v[62:63], v[74:75], v[72:73]
	v_mov_b32_e32 v59, v19
	v_mov_b32_e32 v0, v96
	;; [unrolled: 1-line block ×4, first 2 shown]
	v_pk_add_f32 v[12:13], v[68:69], v[78:79]
	v_pk_add_f32 v[18:19], v[52:53], v[66:67]
	v_pk_add_f32 v[64:65], v[74:75], v[72:73] neg_lo:[0,1] neg_hi:[0,1]
	v_fmac_f32_e32 v2, -0.5, v62
	v_fmac_f32_e32 v9, -0.5, v63
	v_mov_b32_e32 v97, v11
	v_fmac_f32_e32 v0, -0.5, v12
	v_fmac_f32_e32 v11, -0.5, v13
	v_pk_add_f32 v[12:13], v[18:19], v[70:71]
	v_fmamk_f32 v18, v65, 0xbf5db3d7, v2
	v_fmac_f32_e32 v2, 0x3f5db3d7, v65
	v_fmamk_f32 v48, v64, 0x3f5db3d7, v9
	v_fmac_f32_e32 v9, 0xbf5db3d7, v64
	v_pk_add_f32 v[64:65], v[66:67], v[70:71]
	v_pk_add_f32 v[14:15], v[68:69], v[78:79] neg_lo:[0,1] neg_hi:[0,1]
	v_pk_fma_f32 v[52:53], v[64:65], 0.5, v[52:53] op_sel_hi:[1,0,1] neg_lo:[1,0,0] neg_hi:[1,0,0]
	v_pk_add_f32 v[64:65], v[66:67], v[70:71] neg_lo:[0,1] neg_hi:[0,1]
	v_pk_add_f32 v[16:17], v[96:97], v[68:69]
	v_pk_mul_f32 v[64:65], v[64:65], s[14:15] op_sel_hi:[1,0]
	v_pk_mul_f32 v[68:69], v[48:49], s[12:13] op_sel_hi:[0,1]
	v_pk_add_f32 v[60:61], v[60:61], v[74:75]
	v_pk_add_f32 v[66:67], v[52:53], v[64:65] op_sel:[0,1] op_sel_hi:[1,0] neg_lo:[0,1] neg_hi:[0,1]
	v_pk_add_f32 v[52:53], v[52:53], v[64:65] op_sel:[0,1] op_sel_hi:[1,0]
	v_pk_fma_f32 v[70:71], v[18:19], s[2:3], v[68:69] neg_lo:[0,0,1] neg_hi:[0,0,1]
	v_pk_fma_f32 v[18:19], v[18:19], s[2:3], v[68:69] op_sel_hi:[0,1,1]
	v_pk_add_f32 v[60:61], v[60:61], v[72:73]
	v_mov_b32_e32 v64, v66
	v_mov_b32_e32 v65, v53
	;; [unrolled: 1-line block ×3, first 2 shown]
	v_pk_add_f32 v[62:63], v[12:13], v[60:61]
	v_pk_add_f32 v[18:19], v[64:65], v[70:71]
	ds_write2_b64 v31, v[62:63], v[18:19] offset1:18
	v_mov_b32_e32 v18, v9
	v_pk_mul_f32 v[18:19], v[18:19], s[12:13] op_sel_hi:[0,1]
	v_mov_b32_e32 v7, v3
	v_pk_fma_f32 v[2:3], v[2:3], s[10:11], v[18:19] op_sel_hi:[0,1,1] neg_lo:[0,0,1] neg_hi:[0,0,1]
	v_mov_b32_e32 v53, v67
	v_pk_add_f32 v[18:19], v[52:53], v[2:3]
	v_pk_add_f32 v[12:13], v[12:13], v[60:61] neg_lo:[0,1] neg_hi:[0,1]
	v_pk_add_f32 v[4:5], v[50:51], v[58:59]
	ds_write2_b64 v31, v[18:19], v[12:13] offset0:36 offset1:54
	v_pk_add_f32 v[12:13], v[64:65], v[70:71] neg_lo:[0,1] neg_hi:[0,1]
	v_pk_add_f32 v[2:3], v[52:53], v[2:3] neg_lo:[0,1] neg_hi:[0,1]
	v_pk_add_f32 v[4:5], v[4:5], v[6:7]
	v_fmamk_f32 v10, v14, 0x3f5db3d7, v11
	v_fmac_f32_e32 v11, 0xbf5db3d7, v14
	ds_write2_b64 v31, v[12:13], v[2:3] offset0:72 offset1:90
	v_pk_add_f32 v[2:3], v[58:59], v[6:7]
	v_pk_add_f32 v[6:7], v[58:59], v[6:7] neg_lo:[0,1] neg_hi:[0,1]
	v_fmamk_f32 v8, v15, 0xbf5db3d7, v0
	v_pk_fma_f32 v[2:3], v[2:3], 0.5, v[50:51] op_sel_hi:[1,0,1] neg_lo:[1,0,0] neg_hi:[1,0,0]
	v_pk_mul_f32 v[6:7], v[6:7], s[14:15] op_sel_hi:[1,0]
	v_pk_mul_f32 v[18:19], v[10:11], s[12:13] op_sel_hi:[0,1]
	v_pk_add_f32 v[12:13], v[2:3], v[6:7] op_sel:[0,1] op_sel_hi:[1,0] neg_lo:[0,1] neg_hi:[0,1]
	v_pk_add_f32 v[2:3], v[2:3], v[6:7] op_sel:[0,1] op_sel_hi:[1,0]
	v_pk_fma_f32 v[50:51], v[8:9], s[2:3], v[18:19] neg_lo:[0,0,1] neg_hi:[0,0,1]
	v_pk_fma_f32 v[8:9], v[8:9], s[2:3], v[18:19] op_sel_hi:[0,1,1]
	v_pk_add_f32 v[16:17], v[16:17], v[78:79]
	v_mov_b32_e32 v6, v12
	v_mov_b32_e32 v7, v3
	;; [unrolled: 1-line block ×3, first 2 shown]
	v_fmac_f32_e32 v0, 0x3f5db3d7, v15
	v_pk_add_f32 v[14:15], v[4:5], v[16:17]
	v_pk_add_f32 v[8:9], v[6:7], v[50:51]
	ds_write2_b64 v27, v[14:15], v[8:9] offset1:18
	v_mov_b32_e32 v8, v11
	v_pk_mul_f32 v[8:9], v[8:9], s[12:13] op_sel_hi:[0,1]
	v_pk_fma_f32 v[0:1], v[0:1], s[10:11], v[8:9] op_sel_hi:[0,1,1] neg_lo:[0,0,1] neg_hi:[0,0,1]
	v_mov_b32_e32 v3, v13
	v_pk_add_f32 v[8:9], v[2:3], v[0:1]
	v_pk_add_f32 v[4:5], v[4:5], v[16:17] neg_lo:[0,1] neg_hi:[0,1]
	ds_write2_b64 v27, v[8:9], v[4:5] offset0:36 offset1:54
	v_pk_add_f32 v[4:5], v[6:7], v[50:51] neg_lo:[0,1] neg_hi:[0,1]
	v_pk_add_f32 v[0:1], v[2:3], v[0:1] neg_lo:[0,1] neg_hi:[0,1]
	ds_write2_b64 v27, v[4:5], v[0:1] offset0:72 offset1:90
	s_and_saveexec_b64 s[14:15], vcc
	s_cbranch_execz .LBB0_27
; %bb.26:
	s_mov_b32 s16, 0xe38f
	v_mul_u32_u24_sdwa v0, v38, s16 dst_sel:DWORD dst_unused:UNUSED_PAD src0_sel:WORD_0 src1_sel:DWORD
	v_lshrrev_b32_e32 v11, 20, v0
	v_mul_lo_u16_e32 v0, 18, v11
	v_sub_u16_e32 v12, v38, v0
	v_mul_u32_u24_e32 v0, 5, v12
	v_lshlrev_b32_e32 v10, 3, v0
	global_load_dwordx4 v[0:3], v10, s[8:9] offset:120
	global_load_dwordx4 v[4:7], v10, s[8:9] offset:136
	global_load_dwordx2 v[8:9], v10, s[8:9] offset:152
	v_mul_lo_u16_e32 v11, 0x6c, v11
	v_lshlrev_b32_e32 v11, 3, v11
	v_lshlrev_b32_e32 v12, 3, v12
	v_mov_b32_e32 v10, v49
	v_add3_u32 v27, 0, v12, v11
	s_mov_b32 s16, s3
	s_waitcnt vmcnt(2)
	v_pk_mul_f32 v[12:13], v[20:21], v[2:3] op_sel:[1,0]
	s_waitcnt vmcnt(1)
	v_pk_mul_f32 v[14:15], v[44:45], v[6:7] op_sel:[1,0]
	v_pk_mul_f32 v[16:17], v[42:43], v[4:5] op_sel:[1,0]
	s_waitcnt vmcnt(0)
	v_pk_mul_f32 v[18:19], v[46:47], v[8:9] op_sel:[1,0]
	v_pk_mul_f32 v[10:11], v[10:11], v[0:1] op_sel_hi:[0,1]
	v_pk_fma_f32 v[48:49], v[40:41], v[2:3], v[12:13] op_sel:[0,0,1] op_sel_hi:[1,1,0]
	v_pk_fma_f32 v[2:3], v[40:41], v[2:3], v[12:13] op_sel:[0,0,1] op_sel_hi:[0,1,0] neg_lo:[1,0,0] neg_hi:[1,0,0]
	v_pk_fma_f32 v[12:13], v[44:45], v[6:7], v[14:15] op_sel:[0,0,1] op_sel_hi:[1,1,0]
	v_pk_fma_f32 v[6:7], v[44:45], v[6:7], v[14:15] op_sel:[0,0,1] op_sel_hi:[0,1,0] neg_lo:[1,0,0] neg_hi:[1,0,0]
	;; [unrolled: 2-line block ×5, first 2 shown]
	v_mov_b32_e32 v15, v5
	v_mov_b32_e32 v17, v9
	;; [unrolled: 1-line block ×5, first 2 shown]
	v_pk_add_f32 v[2:3], v[14:15], v[16:17]
	v_mov_b32_e32 v0, v18
	v_pk_add_f32 v[4:5], v[14:15], v[16:17] neg_lo:[0,1] neg_hi:[0,1]
	v_pk_add_f32 v[6:7], v[22:23], v[48:49]
	v_pk_add_f32 v[8:9], v[18:19], v[14:15]
	;; [unrolled: 1-line block ×3, first 2 shown]
	v_pk_add_f32 v[14:15], v[48:49], v[12:13] neg_lo:[0,1] neg_hi:[0,1]
	v_fmac_f32_e32 v1, -0.5, v3
	v_fmac_f32_e32 v0, -0.5, v2
	v_pk_add_f32 v[2:3], v[6:7], v[12:13]
	v_pk_add_f32 v[6:7], v[8:9], v[16:17]
	v_pk_fma_f32 v[8:9], -0.5, v[10:11], v[22:23] op_sel_hi:[0,1,1]
	v_pk_mul_f32 v[10:11], v[14:15], s[16:17] op_sel_hi:[1,0]
	v_fmamk_f32 v14, v4, 0xbf5db3d7, v1
	v_fmac_f32_e32 v1, 0x3f5db3d7, v4
	v_pk_add_f32 v[16:17], v[8:9], v[10:11] op_sel:[0,1] op_sel_hi:[1,0] neg_lo:[0,1] neg_hi:[0,1]
	v_pk_add_f32 v[8:9], v[8:9], v[10:11] op_sel:[0,1] op_sel_hi:[1,0]
	v_mov_b32_e32 v10, v1
	v_fmamk_f32 v12, v5, 0x3f5db3d7, v0
	v_fmac_f32_e32 v0, 0xbf5db3d7, v5
	v_pk_mul_f32 v[14:15], v[14:15], s[12:13] op_sel_hi:[0,1]
	v_pk_mul_f32 v[10:11], v[10:11], s[12:13] op_sel_hi:[0,1]
	v_pk_fma_f32 v[12:13], v[12:13], s[10:11], v[14:15] op_sel_hi:[0,1,1] neg_lo:[0,0,1] neg_hi:[0,0,1]
	v_pk_fma_f32 v[14:15], v[0:1], s[2:3], v[10:11] neg_lo:[0,0,1] neg_hi:[0,0,1]
	v_pk_fma_f32 v[0:1], v[0:1], s[2:3], v[10:11] op_sel_hi:[0,1,1]
	v_pk_add_f32 v[4:5], v[2:3], v[6:7]
	v_pk_add_f32 v[2:3], v[2:3], v[6:7] neg_lo:[0,1] neg_hi:[0,1]
	v_mov_b32_e32 v6, v16
	v_mov_b32_e32 v7, v9
	;; [unrolled: 1-line block ×4, first 2 shown]
	v_pk_add_f32 v[10:11], v[8:9], v[12:13]
	v_pk_add_f32 v[0:1], v[6:7], v[14:15]
	v_pk_add_f32 v[8:9], v[8:9], v[12:13] neg_lo:[0,1] neg_hi:[0,1]
	ds_write2_b64 v27, v[10:11], v[2:3] offset0:36 offset1:54
	v_pk_add_f32 v[2:3], v[6:7], v[14:15] neg_lo:[0,1] neg_hi:[0,1]
	ds_write2_b64 v27, v[4:5], v[0:1] offset1:18
	ds_write2_b64 v27, v[2:3], v[8:9] offset0:72 offset1:90
.LBB0_27:
	s_or_b64 exec, exec, s[14:15]
	v_mul_u32_u24_e32 v0, 15, v26
	v_lshlrev_b32_e32 v6, 3, v0
	s_waitcnt lgkmcnt(0)
	s_barrier
	global_load_dwordx4 v[0:3], v6, s[8:9] offset:840
	global_load_dwordx4 v[10:13], v6, s[8:9] offset:856
	global_load_dwordx4 v[14:17], v6, s[8:9] offset:872
	global_load_dwordx4 v[18:21], v6, s[8:9] offset:888
	global_load_dwordx4 v[40:43], v6, s[8:9] offset:904
	global_load_dwordx4 v[44:47], v6, s[8:9] offset:920
	global_load_dwordx4 v[48:51], v6, s[8:9] offset:936
	global_load_dwordx2 v[22:23], v6, s[8:9] offset:952
	ds_read_b64 v[4:5], v55
	ds_read_b64 v[52:53], v54
	v_lshl_add_u32 v6, v32, 3, 0
	v_lshl_add_u32 v8, v36, 3, 0
	;; [unrolled: 1-line block ×3, first 2 shown]
	v_add_u32_e32 v9, 0x1000, v56
	v_add_u32_e32 v27, 0x1800, v56
	;; [unrolled: 1-line block ×5, first 2 shown]
	ds_read_b64 v[78:79], v6
	ds_read_b64 v[80:81], v7
	;; [unrolled: 1-line block ×4, first 2 shown]
	ds_read2_b64 v[58:61], v9 offset0:136 offset1:244
	ds_read2_b64 v[62:65], v27 offset0:96 offset1:204
	ds_read2_b64 v[66:69], v31 offset0:56 offset1:164
	ds_read2_b64 v[70:73], v33 offset0:16 offset1:124
	ds_read2_b64 v[74:77], v35 offset0:104 offset1:212
	s_mov_b32 s2, 0x3f3504f3
	s_mov_b32 s10, 0x3f6c835e
	;; [unrolled: 1-line block ×3, first 2 shown]
	s_waitcnt lgkmcnt(0)
	s_barrier
	v_cmp_ne_u32_e32 vcc, 0, v26
	s_waitcnt vmcnt(7)
	v_pk_mul_f32 v[86:87], v[0:1], v[4:5] op_sel:[0,1]
	v_pk_mul_f32 v[88:89], v[2:3], v[52:53] op_sel:[0,1]
	v_pk_fma_f32 v[94:95], v[0:1], v[4:5], v[86:87] op_sel:[0,0,1] op_sel_hi:[1,1,0]
	v_pk_fma_f32 v[0:1], v[0:1], v[4:5], v[86:87] op_sel:[0,0,1] op_sel_hi:[1,0,0] neg_lo:[1,0,0] neg_hi:[1,0,0]
	s_waitcnt vmcnt(6)
	v_pk_mul_f32 v[90:91], v[10:11], v[82:83] op_sel:[0,1]
	v_pk_mul_f32 v[92:93], v[12:13], v[80:81] op_sel:[0,1]
	v_pk_fma_f32 v[4:5], v[2:3], v[52:53], v[88:89] op_sel:[0,0,1] op_sel_hi:[1,1,0]
	v_pk_fma_f32 v[2:3], v[2:3], v[52:53], v[88:89] op_sel:[0,0,1] op_sel_hi:[1,0,0] neg_lo:[1,0,0] neg_hi:[1,0,0]
	s_waitcnt vmcnt(5)
	v_pk_mul_f32 v[52:53], v[78:79], v[14:15] op_sel:[0,1]
	v_mov_b32_e32 v0, v17
	v_pk_fma_f32 v[86:87], v[10:11], v[82:83], v[90:91] op_sel:[0,0,1] op_sel_hi:[1,1,0]
	v_pk_fma_f32 v[10:11], v[10:11], v[82:83], v[90:91] op_sel:[0,0,1] op_sel_hi:[1,0,0] neg_lo:[1,0,0] neg_hi:[1,0,0]
	v_pk_fma_f32 v[82:83], v[12:13], v[80:81], v[92:93] op_sel:[0,0,1] op_sel_hi:[1,1,0]
	v_pk_fma_f32 v[12:13], v[12:13], v[80:81], v[92:93] op_sel:[0,0,1] op_sel_hi:[1,0,0] neg_lo:[1,0,0] neg_hi:[1,0,0]
	s_waitcnt vmcnt(4)
	v_pk_mul_f32 v[80:81], v[60:61], v[18:19] op_sel:[0,1]
	v_mov_b32_e32 v2, v21
	v_pk_fma_f32 v[88:89], v[78:79], v[14:15], v[52:53] op_sel:[0,0,1] op_sel_hi:[1,1,0]
	v_pk_fma_f32 v[14:15], v[78:79], v[14:15], v[52:53] op_sel:[0,0,1] op_sel_hi:[1,0,0] neg_lo:[0,0,1] neg_hi:[0,0,1]
	v_pk_mul_f32 v[52:53], v[58:59], v[0:1] op_sel_hi:[1,0]
	s_waitcnt vmcnt(3)
	v_mov_b32_e32 v0, v43
	v_pk_fma_f32 v[78:79], v[58:59], v[16:17], v[52:53] op_sel:[0,0,1] op_sel_hi:[1,1,0]
	v_pk_fma_f32 v[16:17], v[58:59], v[16:17], v[52:53] op_sel:[0,0,1] op_sel_hi:[1,0,0] neg_lo:[0,0,1] neg_hi:[0,0,1]
	v_pk_fma_f32 v[58:59], v[60:61], v[18:19], v[80:81] op_sel:[0,0,1] op_sel_hi:[1,1,0]
	v_pk_fma_f32 v[18:19], v[60:61], v[18:19], v[80:81] op_sel:[0,0,1] op_sel_hi:[1,0,0] neg_lo:[0,0,1] neg_hi:[0,0,1]
	v_mov_b32_e32 v95, v1
	v_mov_b32_e32 v5, v3
	v_pk_mul_f32 v[2:3], v[62:63], v[2:3] op_sel_hi:[1,0]
	v_pk_mul_f32 v[0:1], v[66:67], v[0:1] op_sel_hi:[1,0]
	s_waitcnt vmcnt(1)
	v_pk_mul_f32 v[80:81], v[72:73], v[48:49] op_sel:[0,1]
	v_mov_b32_e32 v59, v19
	v_pk_fma_f32 v[18:19], v[62:63], v[20:21], v[2:3] op_sel:[0,0,1] op_sel_hi:[1,1,0]
	v_pk_fma_f32 v[2:3], v[62:63], v[20:21], v[2:3] op_sel:[0,0,1] op_sel_hi:[1,0,0] neg_lo:[0,0,1] neg_hi:[0,0,1]
	v_pk_fma_f32 v[20:21], v[66:67], v[42:43], v[0:1] op_sel:[0,0,1] op_sel_hi:[1,1,0]
	v_pk_fma_f32 v[0:1], v[66:67], v[42:43], v[0:1] op_sel:[0,0,1] op_sel_hi:[1,0,0] neg_lo:[0,0,1] neg_hi:[0,0,1]
	v_mov_b32_e32 v89, v15
	v_mov_b32_e32 v21, v1
	v_pk_fma_f32 v[0:1], v[72:73], v[48:49], v[80:81] op_sel:[0,0,1] op_sel_hi:[1,0,0] neg_lo:[0,0,1] neg_hi:[0,0,1]
	v_pk_fma_f32 v[14:15], v[72:73], v[48:49], v[80:81] op_sel:[0,0,1] op_sel_hi:[1,1,0]
	v_mov_b32_e32 v0, v51
	v_pk_mul_f32 v[52:53], v[64:65], v[40:41] op_sel:[0,1]
	v_mov_b32_e32 v10, v47
	v_mov_b32_e32 v15, v1
	v_pk_mul_f32 v[0:1], v[74:75], v[0:1] op_sel_hi:[1,0]
	v_mov_b32_e32 v87, v11
	v_pk_fma_f32 v[90:91], v[64:65], v[40:41], v[52:53] op_sel:[0,0,1] op_sel_hi:[1,1,0]
	v_pk_fma_f32 v[40:41], v[64:65], v[40:41], v[52:53] op_sel:[0,0,1] op_sel_hi:[1,0,0] neg_lo:[0,0,1] neg_hi:[0,0,1]
	v_pk_mul_f32 v[10:11], v[70:71], v[10:11] op_sel_hi:[1,0]
	v_mov_b32_e32 v19, v3
	v_pk_fma_f32 v[2:3], v[74:75], v[50:51], v[0:1] op_sel:[0,0,1] op_sel_hi:[1,1,0]
	v_pk_fma_f32 v[0:1], v[74:75], v[50:51], v[0:1] op_sel:[0,0,1] op_sel_hi:[1,0,0] neg_lo:[0,0,1] neg_hi:[0,0,1]
	v_mov_b32_e32 v91, v41
	v_pk_fma_f32 v[40:41], v[70:71], v[46:47], v[10:11] op_sel:[0,0,1] op_sel_hi:[1,1,0]
	v_pk_fma_f32 v[10:11], v[70:71], v[46:47], v[10:11] op_sel:[0,0,1] op_sel_hi:[1,0,0] neg_lo:[0,0,1] neg_hi:[0,0,1]
	v_mov_b32_e32 v3, v1
	s_waitcnt vmcnt(0)
	v_pk_mul_f32 v[0:1], v[76:77], v[22:23] op_sel:[0,1]
	v_mov_b32_e32 v83, v13
	v_mov_b32_e32 v41, v11
	v_pk_fma_f32 v[10:11], v[76:77], v[22:23], v[0:1] op_sel:[0,0,1] op_sel_hi:[1,1,0]
	v_pk_fma_f32 v[0:1], v[76:77], v[22:23], v[0:1] op_sel:[0,0,1] op_sel_hi:[1,0,0] neg_lo:[0,0,1] neg_hi:[0,0,1]
	v_mov_b32_e32 v79, v17
	v_mov_b32_e32 v11, v1
	v_pk_add_f32 v[0:1], v[84:85], v[18:19] neg_lo:[0,1] neg_hi:[0,1]
	v_pk_add_f32 v[18:19], v[82:83], v[40:41] neg_lo:[0,1] neg_hi:[0,1]
	;; [unrolled: 1-line block ×3, first 2 shown]
	v_pk_fma_f32 v[22:23], v[82:83], 2.0, v[18:19] op_sel_hi:[1,0,1] neg_lo:[0,0,1] neg_hi:[0,0,1]
	v_pk_add_f32 v[2:3], v[78:79], v[2:3] neg_lo:[0,1] neg_hi:[0,1]
	v_pk_add_f32 v[52:53], v[0:1], v[18:19] op_sel:[0,1] op_sel_hi:[1,0]
	v_pk_add_f32 v[18:19], v[0:1], v[18:19] op_sel:[0,1] op_sel_hi:[1,0] neg_lo:[0,1] neg_hi:[0,1]
	v_pk_mul_f32 v[60:61], v[68:69], v[44:45] op_sel:[0,1]
	v_pk_fma_f32 v[40:41], v[78:79], 2.0, v[2:3] op_sel_hi:[1,0,1] neg_lo:[0,0,1] neg_hi:[0,0,1]
	v_mov_b32_e32 v53, v19
	v_pk_add_f32 v[18:19], v[20:21], v[2:3] op_sel:[0,1] op_sel_hi:[1,0]
	v_pk_add_f32 v[2:3], v[20:21], v[2:3] op_sel:[0,1] op_sel_hi:[1,0] neg_lo:[0,1] neg_hi:[0,1]
	v_pk_fma_f32 v[12:13], v[68:69], v[44:45], v[60:61] op_sel:[0,0,1] op_sel_hi:[1,1,0]
	v_pk_fma_f32 v[44:45], v[68:69], v[44:45], v[60:61] op_sel:[0,0,1] op_sel_hi:[1,0,0] neg_lo:[0,0,1] neg_hi:[0,0,1]
	v_pk_add_f32 v[42:43], v[94:95], v[90:91] neg_lo:[0,1] neg_hi:[0,1]
	v_pk_add_f32 v[14:15], v[88:89], v[14:15] neg_lo:[0,1] neg_hi:[0,1]
	v_mov_b32_e32 v19, v3
	v_mov_b32_e32 v13, v45
	v_pk_fma_f32 v[4:5], v[4:5], 2.0, v[20:21] op_sel_hi:[1,0,1] neg_lo:[0,0,1] neg_hi:[0,0,1]
	v_pk_fma_f32 v[46:47], v[88:89], 2.0, v[14:15] op_sel_hi:[1,0,1] neg_lo:[0,0,1] neg_hi:[0,0,1]
	;; [unrolled: 1-line block ×3, first 2 shown]
	v_pk_add_f32 v[20:21], v[42:43], v[14:15] op_sel:[0,1] op_sel_hi:[1,0]
	v_pk_add_f32 v[14:15], v[42:43], v[14:15] op_sel:[0,1] op_sel_hi:[1,0] neg_lo:[0,1] neg_hi:[0,1]
	v_pk_add_f32 v[12:13], v[86:87], v[12:13] neg_lo:[0,1] neg_hi:[0,1]
	v_pk_add_f32 v[10:11], v[58:59], v[10:11] neg_lo:[0,1] neg_hi:[0,1]
	v_mov_b32_e32 v21, v15
	v_pk_fma_f32 v[44:45], v[94:95], 2.0, v[42:43] op_sel_hi:[1,0,1] neg_lo:[0,0,1] neg_hi:[0,0,1]
	v_pk_fma_f32 v[50:51], v[58:59], 2.0, v[10:11] op_sel_hi:[1,0,1] neg_lo:[0,0,1] neg_hi:[0,0,1]
	;; [unrolled: 1-line block ×3, first 2 shown]
	v_pk_add_f32 v[42:43], v[12:13], v[10:11] op_sel:[0,1] op_sel_hi:[1,0]
	v_pk_add_f32 v[10:11], v[12:13], v[10:11] op_sel:[0,1] op_sel_hi:[1,0] neg_lo:[0,1] neg_hi:[0,1]
	v_pk_fma_f32 v[16:17], v[84:85], 2.0, v[0:1] op_sel_hi:[1,0,1] neg_lo:[0,0,1] neg_hi:[0,0,1]
	v_pk_fma_f32 v[0:1], v[0:1], 2.0, v[52:53] op_sel_hi:[1,0,1] neg_lo:[0,0,1] neg_hi:[0,0,1]
	v_mov_b32_e32 v43, v11
	v_pk_fma_f32 v[48:49], v[86:87], 2.0, v[12:13] op_sel_hi:[1,0,1] neg_lo:[0,0,1] neg_hi:[0,0,1]
	v_pk_fma_f32 v[10:11], v[12:13], 2.0, v[42:43] op_sel_hi:[1,0,1] neg_lo:[0,0,1] neg_hi:[0,0,1]
	v_pk_mul_f32 v[12:13], v[2:3], s[2:3] op_sel_hi:[1,0]
	v_pk_fma_f32 v[2:3], v[2:3], s[2:3], v[0:1] op_sel_hi:[1,0,1] neg_lo:[1,0,0] neg_hi:[1,0,0]
	v_pk_add_f32 v[22:23], v[16:17], v[22:23] neg_lo:[0,1] neg_hi:[0,1]
	v_pk_add_f32 v[58:59], v[2:3], v[12:13] op_sel:[0,1] op_sel_hi:[1,0]
	v_pk_add_f32 v[2:3], v[2:3], v[12:13] op_sel:[0,1] op_sel_hi:[1,0] neg_lo:[0,1] neg_hi:[0,1]
	v_pk_mul_f32 v[12:13], v[10:11], s[2:3] op_sel_hi:[1,0]
	v_pk_fma_f32 v[10:11], v[10:11], s[2:3], v[14:15] op_sel_hi:[1,0,1] neg_lo:[1,0,0] neg_hi:[1,0,0]
	v_pk_add_f32 v[40:41], v[4:5], v[40:41] neg_lo:[0,1] neg_hi:[0,1]
	v_pk_add_f32 v[60:61], v[10:11], v[12:13] op_sel:[0,1] op_sel_hi:[1,0]
	v_pk_add_f32 v[10:11], v[10:11], v[12:13] op_sel:[0,1] op_sel_hi:[1,0] neg_lo:[0,1] neg_hi:[0,1]
	v_pk_add_f32 v[46:47], v[44:45], v[46:47] neg_lo:[0,1] neg_hi:[0,1]
	v_pk_add_f32 v[50:51], v[48:49], v[50:51] neg_lo:[0,1] neg_hi:[0,1]
	v_mov_b32_e32 v59, v3
	v_mov_b32_e32 v61, v11
	v_pk_fma_f32 v[16:17], v[16:17], 2.0, v[22:23] op_sel_hi:[1,0,1] neg_lo:[0,0,1] neg_hi:[0,0,1]
	v_pk_fma_f32 v[4:5], v[4:5], 2.0, v[40:41] op_sel_hi:[1,0,1] neg_lo:[0,0,1] neg_hi:[0,0,1]
	;; [unrolled: 1-line block ×6, first 2 shown]
	v_pk_add_f32 v[4:5], v[16:17], v[4:5] neg_lo:[0,1] neg_hi:[0,1]
	v_pk_add_f32 v[48:49], v[44:45], v[48:49] neg_lo:[0,1] neg_hi:[0,1]
	v_pk_fma_f32 v[14:15], v[12:13], s[10:11], v[0:1] op_sel_hi:[1,0,1] neg_lo:[1,0,0] neg_hi:[1,0,0]
	v_pk_mul_f32 v[12:13], v[12:13], s[12:13] op_sel_hi:[1,0]
	v_pk_fma_f32 v[16:17], v[16:17], 2.0, v[4:5] op_sel_hi:[1,0,1] neg_lo:[0,0,1] neg_hi:[0,0,1]
	v_pk_fma_f32 v[44:45], v[44:45], 2.0, v[48:49] op_sel_hi:[1,0,1] neg_lo:[0,0,1] neg_hi:[0,0,1]
	v_pk_add_f32 v[62:63], v[14:15], v[12:13] op_sel:[0,1] op_sel_hi:[1,0]
	v_pk_add_f32 v[12:13], v[14:15], v[12:13] op_sel:[0,1] op_sel_hi:[1,0] neg_lo:[0,1] neg_hi:[0,1]
	v_pk_add_f32 v[44:45], v[16:17], v[44:45] neg_lo:[0,1] neg_hi:[0,1]
	v_mov_b32_e32 v63, v13
	v_pk_fma_f32 v[16:17], v[16:17], 2.0, v[44:45] op_sel_hi:[1,0,1] neg_lo:[0,0,1] neg_hi:[0,0,1]
	v_pk_fma_f32 v[0:1], v[0:1], 2.0, v[62:63] op_sel_hi:[1,0,1] neg_lo:[0,0,1] neg_hi:[0,0,1]
	ds_write2_b64 v56, v[16:17], v[0:1] offset1:108
	v_pk_add_f32 v[0:1], v[22:23], v[40:41] op_sel:[0,1] op_sel_hi:[1,0]
	v_pk_add_f32 v[12:13], v[22:23], v[40:41] op_sel:[0,1] op_sel_hi:[1,0] neg_lo:[0,1] neg_hi:[0,1]
	v_pk_add_f32 v[14:15], v[46:47], v[50:51] op_sel:[0,1] op_sel_hi:[1,0]
	v_pk_add_f32 v[16:17], v[46:47], v[50:51] op_sel:[0,1] op_sel_hi:[1,0] neg_lo:[0,1] neg_hi:[0,1]
	v_mov_b32_e32 v1, v13
	v_mov_b32_e32 v15, v17
	v_pk_fma_f32 v[12:13], v[22:23], 2.0, v[0:1] op_sel_hi:[1,0,1] neg_lo:[0,0,1] neg_hi:[0,0,1]
	v_pk_fma_f32 v[16:17], v[46:47], 2.0, v[14:15] op_sel_hi:[1,0,1] neg_lo:[0,0,1] neg_hi:[0,0,1]
	v_pk_mul_f32 v[46:47], v[42:43], s[2:3] op_sel_hi:[1,0]
	v_pk_mul_f32 v[22:23], v[16:17], s[2:3] op_sel_hi:[1,0]
	v_pk_fma_f32 v[16:17], v[16:17], s[2:3], v[12:13] op_sel_hi:[1,0,1] neg_lo:[1,0,0] neg_hi:[1,0,0]
	v_pk_fma_f32 v[42:43], v[42:43], s[2:3], v[20:21] op_sel_hi:[1,0,1]
	v_pk_add_f32 v[40:41], v[16:17], v[22:23] op_sel:[0,1] op_sel_hi:[1,0]
	v_pk_add_f32 v[16:17], v[16:17], v[22:23] op_sel:[0,1] op_sel_hi:[1,0] neg_lo:[0,1] neg_hi:[0,1]
	v_pk_add_f32 v[50:51], v[42:43], v[46:47] op_sel:[0,1] op_sel_hi:[1,0]
	v_mov_b32_e32 v41, v17
	v_pk_mul_f32 v[16:17], v[18:19], s[2:3] op_sel_hi:[1,0]
	v_pk_fma_f32 v[18:19], v[18:19], s[2:3], v[52:53] op_sel_hi:[1,0,1]
	v_pk_add_f32 v[42:43], v[42:43], v[46:47] op_sel:[0,1] op_sel_hi:[1,0] neg_lo:[0,1] neg_hi:[0,1]
	v_pk_add_f32 v[22:23], v[18:19], v[16:17] op_sel:[0,1] op_sel_hi:[1,0]
	v_pk_add_f32 v[16:17], v[18:19], v[16:17] op_sel:[0,1] op_sel_hi:[1,0] neg_lo:[0,1] neg_hi:[0,1]
	v_mov_b32_e32 v51, v43
	v_mov_b32_e32 v23, v17
	v_pk_fma_f32 v[18:19], v[52:53], 2.0, v[22:23] op_sel_hi:[1,0,1] neg_lo:[0,0,1] neg_hi:[0,0,1]
	v_pk_fma_f32 v[20:21], v[20:21], 2.0, v[50:51] op_sel_hi:[1,0,1] neg_lo:[0,0,1] neg_hi:[0,0,1]
	v_fmamk_f32 v16, v43, 0x3f6c835e, v17
	v_pk_fma_f32 v[46:47], v[20:21], s[12:13], v[18:19] op_sel_hi:[1,0,1] neg_lo:[1,0,0] neg_hi:[1,0,0]
	v_pk_mul_f32 v[20:21], v[20:21], s[10:11] op_sel_hi:[1,0]
	v_pk_fma_f32 v[12:13], v[12:13], 2.0, v[40:41] op_sel_hi:[1,0,1] neg_lo:[0,0,1] neg_hi:[0,0,1]
	v_pk_add_f32 v[52:53], v[46:47], v[20:21] op_sel:[0,1] op_sel_hi:[1,0]
	v_pk_add_f32 v[20:21], v[46:47], v[20:21] op_sel:[0,1] op_sel_hi:[1,0] neg_lo:[0,1] neg_hi:[0,1]
	v_fmamk_f32 v10, v60, 0x3ec3ef15, v58
	v_fmamk_f32 v20, v50, 0x3f6c835e, v22
	v_mov_b32_e32 v53, v21
	v_fmac_f32_e32 v20, 0x3ec3ef15, v43
	v_pk_fma_f32 v[18:19], v[18:19], 2.0, v[52:53] op_sel_hi:[1,0,1] neg_lo:[0,0,1] neg_hi:[0,0,1]
	v_fmamk_f32 v21, v50, 0xbec3ef15, v16
	v_fma_f32 v16, v22, 2.0, -v20
	v_add_u32_e32 v22, 0x400, v56
	v_fmamk_f32 v2, v11, 0x3ec3ef15, v3
	ds_write2_b64 v22, v[12:13], v[18:19] offset0:88 offset1:196
	v_pk_add_f32 v[12:13], v[4:5], v[48:49] op_sel:[0,1] op_sel_hi:[1,0]
	v_pk_add_f32 v[18:19], v[4:5], v[48:49] op_sel:[0,1] op_sel_hi:[1,0] neg_lo:[0,1] neg_hi:[0,1]
	v_fmac_f32_e32 v10, 0x3f6c835e, v11
	v_fmamk_f32 v11, v60, 0xbf6c835e, v2
	v_mov_b32_e32 v13, v19
	v_fma_f32 v2, v58, 2.0, -v10
	v_fma_f32 v3, v3, 2.0, -v11
	v_pk_fma_f32 v[4:5], v[4:5], 2.0, v[12:13] op_sel_hi:[1,0,1] neg_lo:[0,0,1] neg_hi:[0,0,1]
	v_add_u32_e32 v18, 0xc00, v56
	ds_write2_b64 v18, v[4:5], v[2:3] offset0:48 offset1:156
	v_pk_mul_f32 v[2:3], v[14:15], s[2:3] op_sel_hi:[1,0]
	v_pk_fma_f32 v[4:5], v[14:15], s[2:3], v[0:1] op_sel_hi:[1,0,1]
	v_fma_f32 v17, v17, 2.0, -v21
	v_pk_add_f32 v[14:15], v[4:5], v[2:3] op_sel:[0,1] op_sel_hi:[1,0]
	v_pk_add_f32 v[2:3], v[4:5], v[2:3] op_sel:[0,1] op_sel_hi:[1,0] neg_lo:[0,1] neg_hi:[0,1]
	s_add_u32 s2, s8, 0x35e8
	v_mov_b32_e32 v15, v3
	v_pk_fma_f32 v[0:1], v[0:1], 2.0, v[14:15] op_sel_hi:[1,0,1] neg_lo:[0,0,1] neg_hi:[0,0,1]
	ds_write2_b64 v9, v[0:1], v[16:17] offset0:136 offset1:244
	ds_write2_b64 v27, v[44:45], v[62:63] offset0:96 offset1:204
	;; [unrolled: 1-line block ×5, first 2 shown]
	s_waitcnt lgkmcnt(0)
	s_barrier
	ds_read_b64 v[4:5], v56
	v_lshlrev_b32_e32 v0, 3, v26
	s_addc_u32 s3, s9, 0
	v_sub_u32_e32 v9, 0, v0
                                        ; implicit-def: $vgpr3
                                        ; implicit-def: $vgpr0_vgpr1
	s_and_saveexec_b64 s[8:9], vcc
	s_xor_b64 s[8:9], exec, s[8:9]
	s_cbranch_execz .LBB0_29
; %bb.28:
	v_mov_b32_e32 v27, 0
	v_lshl_add_u64 v[0:1], v[26:27], 3, s[2:3]
	global_load_dwordx2 v[0:1], v[0:1], off
	ds_read_b64 v[2:3], v9 offset:13824
	v_mov_b32_e32 v11, 0.5
	v_mov_b32_e32 v12, v11
	s_waitcnt lgkmcnt(0)
	v_pk_add_f32 v[14:15], v[2:3], v[4:5]
	v_pk_add_f32 v[2:3], v[4:5], v[2:3] neg_lo:[0,1] neg_hi:[0,1]
	v_mov_b32_e32 v4, v15
	v_mov_b32_e32 v5, v2
	v_pk_mul_f32 v[4:5], v[4:5], 0.5 op_sel_hi:[1,0]
	s_waitcnt vmcnt(0)
	v_mov_b32_e32 v10, v1
	v_mov_b32_e32 v2, v5
	;; [unrolled: 1-line block ×4, first 2 shown]
	v_pk_mul_f32 v[2:3], v[10:11], v[2:3]
	v_pk_mul_f32 v[16:17], v[0:1], v[4:5] op_sel_hi:[0,1]
	v_pk_fma_f32 v[10:11], v[14:15], v[12:13], v[2:3]
	v_pk_fma_f32 v[12:13], v[14:15], v[12:13], v[2:3] neg_lo:[0,0,1] neg_hi:[0,0,1]
	v_pk_fma_f32 v[2:3], v[0:1], v[4:5], v[10:11] op_sel_hi:[0,1,1] neg_lo:[1,0,0] neg_hi:[1,0,0]
	v_pk_fma_f32 v[0:1], v[0:1], v[4:5], v[12:13] op_sel_hi:[0,1,1] neg_lo:[1,0,0] neg_hi:[1,0,0]
	v_add_f32_e32 v2, v10, v16
                                        ; implicit-def: $vgpr4_vgpr5
.LBB0_29:
	s_andn2_saveexec_b64 s[8:9], s[8:9]
	s_cbranch_execz .LBB0_31
; %bb.30:
	s_waitcnt lgkmcnt(0)
	v_mov_b32_e32 v0, v5
	v_pk_add_f32 v[0:1], v[4:5], v[0:1] neg_lo:[0,1] neg_hi:[0,1]
	v_add_f32_e32 v2, v5, v4
	v_mov_b32_e32 v1, 0
	ds_read_b32 v3, v1 offset:6916
	s_waitcnt lgkmcnt(0)
	v_xor_b32_e32 v3, 0x80000000, v3
	ds_write_b32 v1, v3 offset:6916
	v_mov_b32_e32 v3, v1
.LBB0_31:
	s_or_b64 exec, exec, s[8:9]
	v_mov_b32_e32 v31, 0
	s_waitcnt lgkmcnt(0)
	v_lshl_add_u64 v[4:5], v[30:31], 3, s[2:3]
	global_load_dwordx2 v[4:5], v[4:5], off
	v_mov_b32_e32 v39, v31
	v_lshl_add_u64 v[10:11], v[38:39], 3, s[2:3]
	global_load_dwordx2 v[10:11], v[10:11], off
	v_mov_b32_e32 v37, v31
	;; [unrolled: 3-line block ×4, first 2 shown]
	ds_write_b64 v56, v[2:3]
	ds_write_b64 v9, v[0:1] offset:13824
	v_lshl_add_u64 v[32:33], v[32:33], 3, s[2:3]
	ds_read_b64 v[2:3], v55
	ds_read_b64 v[16:17], v9 offset:12960
	global_load_dwordx2 v[32:33], v[32:33], off
	v_mov_b32_e32 v1, 0.5
	v_mov_b32_e32 v18, v1
	v_add_u32_e32 v30, 0x288, v26
	s_waitcnt lgkmcnt(0)
	v_pk_add_f32 v[36:37], v[2:3], v[16:17]
	v_pk_add_f32 v[2:3], v[2:3], v[16:17] neg_lo:[0,1] neg_hi:[0,1]
	v_mov_b32_e32 v16, v37
	v_mov_b32_e32 v17, v2
	v_pk_mul_f32 v[16:17], v[16:17], 0.5 op_sel_hi:[1,0]
	v_lshl_add_u64 v[34:35], v[30:31], 3, s[2:3]
	v_mov_b32_e32 v37, v16
	v_mov_b32_e32 v2, v17
	;; [unrolled: 1-line block ×3, first 2 shown]
	v_add_u32_e32 v30, 0x2f4, v26
	v_mov_b32_e32 v22, v1
	s_waitcnt vmcnt(4)
	v_mov_b32_e32 v19, v5
	v_mov_b32_e32 v0, v5
	v_pk_mul_f32 v[18:19], v[36:37], v[18:19]
	s_waitcnt vmcnt(3)
	v_mov_b32_e32 v21, v11
	v_pk_fma_f32 v[36:37], v[0:1], v[2:3], v[18:19] neg_lo:[1,0,0] neg_hi:[1,0,0]
	v_pk_fma_f32 v[2:3], v[0:1], v[2:3], v[18:19]
	v_pk_fma_f32 v[18:19], v[4:5], v[16:17], v[36:37] op_sel_hi:[0,1,1] neg_lo:[1,0,0] neg_hi:[1,0,0]
	v_pk_fma_f32 v[36:37], v[4:5], v[16:17], v[2:3] op_sel_hi:[0,1,1]
	v_pk_fma_f32 v[2:3], v[4:5], v[16:17], v[2:3] op_sel_hi:[0,1,1] neg_lo:[1,0,0] neg_hi:[1,0,0]
	v_mov_b32_e32 v37, v3
	ds_write_b64 v55, v[36:37]
	ds_write_b64 v9, v[18:19] offset:12960
	ds_read_b64 v[2:3], v54
	ds_read_b64 v[4:5], v9 offset:12096
	global_load_dwordx2 v[16:17], v[34:35], off
	v_mov_b32_e32 v0, v11
	s_waitcnt vmcnt(3)
	v_mov_b32_e32 v23, v13
	s_waitcnt lgkmcnt(0)
	v_pk_add_f32 v[18:19], v[2:3], v[4:5]
	v_pk_add_f32 v[2:3], v[2:3], v[4:5] neg_lo:[0,1] neg_hi:[0,1]
	v_mov_b32_e32 v4, v19
	v_mov_b32_e32 v5, v2
	v_pk_mul_f32 v[4:5], v[4:5], 0.5 op_sel_hi:[1,0]
	s_nop 0
	v_mov_b32_e32 v19, v4
	v_mov_b32_e32 v2, v5
	v_pk_mul_f32 v[18:19], v[18:19], v[20:21]
	s_nop 0
	v_pk_fma_f32 v[20:21], v[0:1], v[2:3], v[18:19] neg_lo:[1,0,0] neg_hi:[1,0,0]
	v_pk_fma_f32 v[2:3], v[0:1], v[2:3], v[18:19]
	v_pk_fma_f32 v[18:19], v[10:11], v[4:5], v[20:21] op_sel_hi:[0,1,1] neg_lo:[1,0,0] neg_hi:[1,0,0]
	v_pk_fma_f32 v[20:21], v[10:11], v[4:5], v[2:3] op_sel_hi:[0,1,1]
	v_pk_fma_f32 v[2:3], v[10:11], v[4:5], v[2:3] op_sel_hi:[0,1,1] neg_lo:[1,0,0] neg_hi:[1,0,0]
	v_mov_b32_e32 v21, v3
	ds_write_b64 v54, v[20:21]
	ds_write_b64 v9, v[18:19] offset:12096
	v_lshl_add_u64 v[10:11], v[30:31], 3, s[2:3]
	ds_read_b64 v[2:3], v8
	ds_read_b64 v[4:5], v9 offset:11232
	global_load_dwordx2 v[10:11], v[10:11], off
	v_mov_b32_e32 v0, v13
	s_waitcnt lgkmcnt(0)
	v_pk_add_f32 v[18:19], v[2:3], v[4:5]
	v_pk_add_f32 v[2:3], v[2:3], v[4:5] neg_lo:[0,1] neg_hi:[0,1]
	v_mov_b32_e32 v4, v19
	v_mov_b32_e32 v5, v2
	v_pk_mul_f32 v[4:5], v[4:5], 0.5 op_sel_hi:[1,0]
	s_nop 0
	v_mov_b32_e32 v19, v4
	v_mov_b32_e32 v2, v5
	v_pk_mul_f32 v[18:19], v[18:19], v[22:23]
	s_nop 0
	v_pk_fma_f32 v[20:21], v[0:1], v[2:3], v[18:19] neg_lo:[1,0,0] neg_hi:[1,0,0]
	v_pk_fma_f32 v[2:3], v[0:1], v[2:3], v[18:19]
	v_pk_fma_f32 v[18:19], v[12:13], v[4:5], v[20:21] op_sel_hi:[0,1,1] neg_lo:[1,0,0] neg_hi:[1,0,0]
	v_pk_fma_f32 v[20:21], v[12:13], v[4:5], v[2:3] op_sel_hi:[0,1,1]
	v_pk_fma_f32 v[2:3], v[12:13], v[4:5], v[2:3] op_sel_hi:[0,1,1] neg_lo:[1,0,0] neg_hi:[1,0,0]
	v_mov_b32_e32 v21, v3
	ds_write_b64 v8, v[20:21]
	ds_write_b64 v9, v[18:19] offset:11232
	ds_read_b64 v[2:3], v7
	ds_read_b64 v[4:5], v9 offset:10368
	v_mov_b32_e32 v12, v1
	s_waitcnt vmcnt(3)
	v_mov_b32_e32 v13, v15
	v_mov_b32_e32 v0, v15
	s_waitcnt lgkmcnt(0)
	v_pk_add_f32 v[18:19], v[2:3], v[4:5]
	v_pk_add_f32 v[2:3], v[2:3], v[4:5] neg_lo:[0,1] neg_hi:[0,1]
	v_mov_b32_e32 v4, v19
	v_mov_b32_e32 v5, v2
	v_pk_mul_f32 v[4:5], v[4:5], 0.5 op_sel_hi:[1,0]
	s_nop 0
	v_mov_b32_e32 v19, v4
	v_mov_b32_e32 v2, v5
	v_pk_mul_f32 v[12:13], v[18:19], v[12:13]
	s_nop 0
	v_pk_fma_f32 v[18:19], v[0:1], v[2:3], v[12:13] neg_lo:[1,0,0] neg_hi:[1,0,0]
	v_pk_fma_f32 v[2:3], v[0:1], v[2:3], v[12:13]
	v_pk_fma_f32 v[12:13], v[14:15], v[4:5], v[18:19] op_sel_hi:[0,1,1] neg_lo:[1,0,0] neg_hi:[1,0,0]
	v_pk_fma_f32 v[18:19], v[14:15], v[4:5], v[2:3] op_sel_hi:[0,1,1]
	v_pk_fma_f32 v[2:3], v[14:15], v[4:5], v[2:3] op_sel_hi:[0,1,1] neg_lo:[1,0,0] neg_hi:[1,0,0]
	v_mov_b32_e32 v19, v3
	ds_write_b64 v7, v[18:19]
	ds_write_b64 v9, v[12:13] offset:10368
	ds_read_b64 v[2:3], v6
	ds_read_b64 v[4:5], v9 offset:9504
	v_mov_b32_e32 v12, v1
	s_waitcnt vmcnt(2)
	v_mov_b32_e32 v13, v33
	v_mov_b32_e32 v0, v33
	s_waitcnt lgkmcnt(0)
	v_pk_add_f32 v[14:15], v[2:3], v[4:5]
	v_pk_add_f32 v[2:3], v[2:3], v[4:5] neg_lo:[0,1] neg_hi:[0,1]
	v_mov_b32_e32 v4, v15
	v_mov_b32_e32 v5, v2
	v_pk_mul_f32 v[4:5], v[4:5], 0.5 op_sel_hi:[1,0]
	s_waitcnt vmcnt(1)
	v_mov_b32_e32 v7, v17
	v_mov_b32_e32 v15, v4
	;; [unrolled: 1-line block ×3, first 2 shown]
	v_pk_mul_f32 v[12:13], v[14:15], v[12:13]
	s_nop 0
	v_pk_fma_f32 v[14:15], v[0:1], v[2:3], v[12:13] neg_lo:[1,0,0] neg_hi:[1,0,0]
	v_pk_fma_f32 v[2:3], v[0:1], v[2:3], v[12:13]
	v_pk_fma_f32 v[12:13], v[32:33], v[4:5], v[14:15] op_sel_hi:[0,1,1] neg_lo:[1,0,0] neg_hi:[1,0,0]
	v_pk_fma_f32 v[14:15], v[32:33], v[4:5], v[2:3] op_sel_hi:[0,1,1]
	v_pk_fma_f32 v[2:3], v[32:33], v[4:5], v[2:3] op_sel_hi:[0,1,1] neg_lo:[1,0,0] neg_hi:[1,0,0]
	v_mov_b32_e32 v15, v3
	ds_write_b64 v6, v[14:15]
	ds_write_b64 v9, v[12:13] offset:9504
	ds_read_b64 v[2:3], v56 offset:5184
	ds_read_b64 v[4:5], v9 offset:8640
	v_mov_b32_e32 v6, v1
	v_mov_b32_e32 v0, v17
	s_waitcnt lgkmcnt(0)
	v_pk_add_f32 v[12:13], v[2:3], v[4:5]
	v_pk_add_f32 v[2:3], v[2:3], v[4:5] neg_lo:[0,1] neg_hi:[0,1]
	v_mov_b32_e32 v4, v13
	v_mov_b32_e32 v5, v2
	v_pk_mul_f32 v[4:5], v[4:5], 0.5 op_sel_hi:[1,0]
	s_nop 0
	v_mov_b32_e32 v13, v4
	v_mov_b32_e32 v2, v5
	v_pk_mul_f32 v[6:7], v[12:13], v[6:7]
	s_nop 0
	v_pk_fma_f32 v[12:13], v[0:1], v[2:3], v[6:7] neg_lo:[1,0,0] neg_hi:[1,0,0]
	v_pk_fma_f32 v[2:3], v[0:1], v[2:3], v[6:7]
	v_pk_fma_f32 v[6:7], v[16:17], v[4:5], v[12:13] op_sel_hi:[0,1,1] neg_lo:[1,0,0] neg_hi:[1,0,0]
	v_pk_fma_f32 v[12:13], v[16:17], v[4:5], v[2:3] op_sel_hi:[0,1,1]
	v_pk_fma_f32 v[2:3], v[16:17], v[4:5], v[2:3] op_sel_hi:[0,1,1] neg_lo:[1,0,0] neg_hi:[1,0,0]
	v_mov_b32_e32 v13, v3
	ds_write_b64 v56, v[12:13] offset:5184
	ds_write_b64 v9, v[6:7] offset:8640
	ds_read_b64 v[2:3], v56 offset:6048
	ds_read_b64 v[4:5], v9 offset:7776
	v_mov_b32_e32 v6, v1
	s_waitcnt vmcnt(0)
	v_mov_b32_e32 v7, v11
	v_mov_b32_e32 v0, v11
	s_waitcnt lgkmcnt(0)
	v_pk_add_f32 v[12:13], v[2:3], v[4:5]
	v_pk_add_f32 v[2:3], v[2:3], v[4:5] neg_lo:[0,1] neg_hi:[0,1]
	v_mov_b32_e32 v4, v13
	v_mov_b32_e32 v5, v2
	v_pk_mul_f32 v[4:5], v[4:5], 0.5 op_sel_hi:[1,0]
	s_nop 0
	v_mov_b32_e32 v13, v4
	v_mov_b32_e32 v2, v5
	v_pk_mul_f32 v[6:7], v[12:13], v[6:7]
	s_nop 0
	v_pk_fma_f32 v[12:13], v[0:1], v[2:3], v[6:7] neg_lo:[1,0,0] neg_hi:[1,0,0]
	v_pk_fma_f32 v[0:1], v[0:1], v[2:3], v[6:7]
	v_pk_fma_f32 v[2:3], v[10:11], v[4:5], v[12:13] op_sel_hi:[0,1,1] neg_lo:[1,0,0] neg_hi:[1,0,0]
	v_pk_fma_f32 v[6:7], v[10:11], v[4:5], v[0:1] op_sel_hi:[0,1,1]
	v_pk_fma_f32 v[0:1], v[10:11], v[4:5], v[0:1] op_sel_hi:[0,1,1] neg_lo:[1,0,0] neg_hi:[1,0,0]
	v_mov_b32_e32 v7, v1
	ds_write_b64 v56, v[6:7] offset:6048
	ds_write_b64 v9, v[2:3] offset:7776
	s_waitcnt lgkmcnt(0)
	s_barrier
	s_and_saveexec_b64 s[2:3], s[0:1]
	s_cbranch_execz .LBB0_34
; %bb.32:
	v_mul_lo_u32 v2, s5, v28
	v_mul_lo_u32 v3, s4, v29
	v_mad_u64_u32 v[0:1], s[0:1], s4, v28, 0
	v_lshl_add_u32 v10, v26, 3, 0
	v_add3_u32 v1, v1, v3, v2
	ds_read2_b64 v[2:5], v10 offset1:108
	v_lshl_add_u64 v[0:1], v[0:1], 3, s[6:7]
	v_mov_b32_e32 v27, v31
	v_lshl_add_u64 v[0:1], v[24:25], 3, v[0:1]
	v_lshl_add_u64 v[6:7], v[26:27], 3, v[0:1]
	s_waitcnt lgkmcnt(0)
	global_store_dwordx2 v[6:7], v[2:3], off
	v_add_u32_e32 v2, 0x400, v10
	ds_read2_b64 v[6:9], v2 offset0:88 offset1:196
	v_add_u32_e32 v30, 0x6c, v26
	v_lshl_add_u64 v[2:3], v[30:31], 3, v[0:1]
	v_add_u32_e32 v30, 0xd8, v26
	global_store_dwordx2 v[2:3], v[4:5], off
	v_lshl_add_u64 v[2:3], v[30:31], 3, v[0:1]
	s_waitcnt lgkmcnt(0)
	global_store_dwordx2 v[2:3], v[6:7], off
	v_add_u32_e32 v2, 0xc00, v10
	ds_read2_b64 v[2:5], v2 offset0:48 offset1:156
	v_add_u32_e32 v30, 0x144, v26
	v_lshl_add_u64 v[6:7], v[30:31], 3, v[0:1]
	v_add_u32_e32 v30, 0x1b0, v26
	global_store_dwordx2 v[6:7], v[8:9], off
	;; [unrolled: 9-line block ×7, first 2 shown]
	v_lshl_add_u64 v[2:3], v[30:31], 3, v[0:1]
	v_add_u32_e32 v30, 0x654, v26
	s_movk_i32 s0, 0x6b
	s_waitcnt lgkmcnt(0)
	global_store_dwordx2 v[2:3], v[6:7], off
	v_lshl_add_u64 v[2:3], v[30:31], 3, v[0:1]
	v_cmp_eq_u32_e32 vcc, s0, v26
	global_store_dwordx2 v[2:3], v[8:9], off
	s_and_b64 exec, exec, vcc
	s_cbranch_execz .LBB0_34
; %bb.33:
	v_mov_b32_e32 v2, 0
	ds_read_b64 v[2:3], v2 offset:13824
	v_add_co_u32_e32 v0, vcc, 0x3000, v0
	s_nop 1
	v_addc_co_u32_e32 v1, vcc, 0, v1, vcc
	s_waitcnt lgkmcnt(0)
	global_store_dwordx2 v[0:1], v[2:3], off offset:1536
.LBB0_34:
	s_endpgm
	.section	.rodata,"a",@progbits
	.p2align	6, 0x0
	.amdhsa_kernel fft_rtc_back_len1728_factors_3_6_6_16_wgs_108_tpt_108_halfLds_sp_op_CI_CI_unitstride_sbrr_R2C_dirReg
		.amdhsa_group_segment_fixed_size 0
		.amdhsa_private_segment_fixed_size 0
		.amdhsa_kernarg_size 104
		.amdhsa_user_sgpr_count 2
		.amdhsa_user_sgpr_dispatch_ptr 0
		.amdhsa_user_sgpr_queue_ptr 0
		.amdhsa_user_sgpr_kernarg_segment_ptr 1
		.amdhsa_user_sgpr_dispatch_id 0
		.amdhsa_user_sgpr_kernarg_preload_length 0
		.amdhsa_user_sgpr_kernarg_preload_offset 0
		.amdhsa_user_sgpr_private_segment_size 0
		.amdhsa_uses_dynamic_stack 0
		.amdhsa_enable_private_segment 0
		.amdhsa_system_sgpr_workgroup_id_x 1
		.amdhsa_system_sgpr_workgroup_id_y 0
		.amdhsa_system_sgpr_workgroup_id_z 0
		.amdhsa_system_sgpr_workgroup_info 0
		.amdhsa_system_vgpr_workitem_id 0
		.amdhsa_next_free_vgpr 100
		.amdhsa_next_free_sgpr 28
		.amdhsa_accum_offset 100
		.amdhsa_reserve_vcc 1
		.amdhsa_float_round_mode_32 0
		.amdhsa_float_round_mode_16_64 0
		.amdhsa_float_denorm_mode_32 3
		.amdhsa_float_denorm_mode_16_64 3
		.amdhsa_dx10_clamp 1
		.amdhsa_ieee_mode 1
		.amdhsa_fp16_overflow 0
		.amdhsa_tg_split 0
		.amdhsa_exception_fp_ieee_invalid_op 0
		.amdhsa_exception_fp_denorm_src 0
		.amdhsa_exception_fp_ieee_div_zero 0
		.amdhsa_exception_fp_ieee_overflow 0
		.amdhsa_exception_fp_ieee_underflow 0
		.amdhsa_exception_fp_ieee_inexact 0
		.amdhsa_exception_int_div_zero 0
	.end_amdhsa_kernel
	.text
.Lfunc_end0:
	.size	fft_rtc_back_len1728_factors_3_6_6_16_wgs_108_tpt_108_halfLds_sp_op_CI_CI_unitstride_sbrr_R2C_dirReg, .Lfunc_end0-fft_rtc_back_len1728_factors_3_6_6_16_wgs_108_tpt_108_halfLds_sp_op_CI_CI_unitstride_sbrr_R2C_dirReg
                                        ; -- End function
	.section	.AMDGPU.csdata,"",@progbits
; Kernel info:
; codeLenInByte = 10052
; NumSgprs: 34
; NumVgprs: 100
; NumAgprs: 0
; TotalNumVgprs: 100
; ScratchSize: 0
; MemoryBound: 0
; FloatMode: 240
; IeeeMode: 1
; LDSByteSize: 0 bytes/workgroup (compile time only)
; SGPRBlocks: 4
; VGPRBlocks: 12
; NumSGPRsForWavesPerEU: 34
; NumVGPRsForWavesPerEU: 100
; AccumOffset: 100
; Occupancy: 4
; WaveLimiterHint : 1
; COMPUTE_PGM_RSRC2:SCRATCH_EN: 0
; COMPUTE_PGM_RSRC2:USER_SGPR: 2
; COMPUTE_PGM_RSRC2:TRAP_HANDLER: 0
; COMPUTE_PGM_RSRC2:TGID_X_EN: 1
; COMPUTE_PGM_RSRC2:TGID_Y_EN: 0
; COMPUTE_PGM_RSRC2:TGID_Z_EN: 0
; COMPUTE_PGM_RSRC2:TIDIG_COMP_CNT: 0
; COMPUTE_PGM_RSRC3_GFX90A:ACCUM_OFFSET: 24
; COMPUTE_PGM_RSRC3_GFX90A:TG_SPLIT: 0
	.text
	.p2alignl 6, 3212836864
	.fill 256, 4, 3212836864
	.type	__hip_cuid_a040052a1609648d,@object ; @__hip_cuid_a040052a1609648d
	.section	.bss,"aw",@nobits
	.globl	__hip_cuid_a040052a1609648d
__hip_cuid_a040052a1609648d:
	.byte	0                               ; 0x0
	.size	__hip_cuid_a040052a1609648d, 1

	.ident	"AMD clang version 19.0.0git (https://github.com/RadeonOpenCompute/llvm-project roc-6.4.0 25133 c7fe45cf4b819c5991fe208aaa96edf142730f1d)"
	.section	".note.GNU-stack","",@progbits
	.addrsig
	.addrsig_sym __hip_cuid_a040052a1609648d
	.amdgpu_metadata
---
amdhsa.kernels:
  - .agpr_count:     0
    .args:
      - .actual_access:  read_only
        .address_space:  global
        .offset:         0
        .size:           8
        .value_kind:     global_buffer
      - .offset:         8
        .size:           8
        .value_kind:     by_value
      - .actual_access:  read_only
        .address_space:  global
        .offset:         16
        .size:           8
        .value_kind:     global_buffer
      - .actual_access:  read_only
        .address_space:  global
        .offset:         24
        .size:           8
        .value_kind:     global_buffer
      - .actual_access:  read_only
        .address_space:  global
        .offset:         32
        .size:           8
        .value_kind:     global_buffer
      - .offset:         40
        .size:           8
        .value_kind:     by_value
      - .actual_access:  read_only
        .address_space:  global
        .offset:         48
        .size:           8
        .value_kind:     global_buffer
      - .actual_access:  read_only
        .address_space:  global
        .offset:         56
        .size:           8
        .value_kind:     global_buffer
      - .offset:         64
        .size:           4
        .value_kind:     by_value
      - .actual_access:  read_only
        .address_space:  global
        .offset:         72
        .size:           8
        .value_kind:     global_buffer
      - .actual_access:  read_only
        .address_space:  global
        .offset:         80
        .size:           8
        .value_kind:     global_buffer
      - .actual_access:  read_only
        .address_space:  global
        .offset:         88
        .size:           8
        .value_kind:     global_buffer
      - .actual_access:  write_only
        .address_space:  global
        .offset:         96
        .size:           8
        .value_kind:     global_buffer
    .group_segment_fixed_size: 0
    .kernarg_segment_align: 8
    .kernarg_segment_size: 104
    .language:       OpenCL C
    .language_version:
      - 2
      - 0
    .max_flat_workgroup_size: 108
    .name:           fft_rtc_back_len1728_factors_3_6_6_16_wgs_108_tpt_108_halfLds_sp_op_CI_CI_unitstride_sbrr_R2C_dirReg
    .private_segment_fixed_size: 0
    .sgpr_count:     34
    .sgpr_spill_count: 0
    .symbol:         fft_rtc_back_len1728_factors_3_6_6_16_wgs_108_tpt_108_halfLds_sp_op_CI_CI_unitstride_sbrr_R2C_dirReg.kd
    .uniform_work_group_size: 1
    .uses_dynamic_stack: false
    .vgpr_count:     100
    .vgpr_spill_count: 0
    .wavefront_size: 64
amdhsa.target:   amdgcn-amd-amdhsa--gfx950
amdhsa.version:
  - 1
  - 2
...

	.end_amdgpu_metadata
